;; amdgpu-corpus repo=ROCm/rocFFT kind=compiled arch=gfx1201 opt=O3
	.text
	.amdgcn_target "amdgcn-amd-amdhsa--gfx1201"
	.amdhsa_code_object_version 6
	.protected	bluestein_single_fwd_len3000_dim1_sp_op_CI_CI ; -- Begin function bluestein_single_fwd_len3000_dim1_sp_op_CI_CI
	.globl	bluestein_single_fwd_len3000_dim1_sp_op_CI_CI
	.p2align	8
	.type	bluestein_single_fwd_len3000_dim1_sp_op_CI_CI,@function
bluestein_single_fwd_len3000_dim1_sp_op_CI_CI: ; @bluestein_single_fwd_len3000_dim1_sp_op_CI_CI
; %bb.0:
	s_load_b128 s[16:19], s[0:1], 0x28
	v_mul_u32_u24_e32 v1, 0x290, v0
	s_mov_b32 s2, exec_lo
	v_mov_b32_e32 v3, 0
	s_delay_alu instid0(VALU_DEP_2) | instskip(NEXT) | instid1(VALU_DEP_1)
	v_lshrrev_b32_e32 v1, 16, v1
	v_add_nc_u32_e32 v2, ttmp9, v1
	s_wait_kmcnt 0x0
	s_delay_alu instid0(VALU_DEP_1)
	v_cmpx_gt_u64_e64 s[16:17], v[2:3]
	s_cbranch_execz .LBB0_2
; %bb.1:
	s_clause 0x1
	s_load_b128 s[4:7], s[0:1], 0x18
	s_load_b128 s[8:11], s[0:1], 0x0
	v_mul_lo_u16 v1, 0x64, v1
	s_load_b64 s[0:1], s[0:1], 0x38
	v_mov_b32_e32 v4, v2
	s_delay_alu instid0(VALU_DEP_2)
	v_sub_nc_u16 v44, v0, v1
	scratch_store_b64 off, v[4:5], off      ; 8-byte Folded Spill
	v_and_b32_e32 v7, 0xffff, v44
	s_wait_kmcnt 0x0
	s_load_b128 s[12:15], s[4:5], 0x0
	s_wait_kmcnt 0x0
	v_mad_co_u64_u32 v[0:1], null, s14, v2, 0
	v_mad_co_u64_u32 v[2:3], null, s12, v7, 0
	s_mul_u64 s[2:3], s[12:13], 0x960
	s_mul_i32 s4, s13, 0xffffaec0
	s_delay_alu instid0(SALU_CYCLE_1) | instskip(NEXT) | instid1(VALU_DEP_1)
	s_sub_co_i32 s4, s4, s12
	v_mad_co_u64_u32 v[4:5], null, s15, v4, v[1:2]
	s_delay_alu instid0(VALU_DEP_1) | instskip(SKIP_1) | instid1(VALU_DEP_1)
	v_mad_co_u64_u32 v[5:6], null, s13, v7, v[3:4]
	v_mov_b32_e32 v1, v4
	v_lshlrev_b64_e32 v[0:1], 3, v[0:1]
	s_delay_alu instid0(VALU_DEP_3) | instskip(NEXT) | instid1(VALU_DEP_2)
	v_mov_b32_e32 v3, v5
	v_add_co_u32 v0, vcc_lo, s18, v0
	s_delay_alu instid0(VALU_DEP_2) | instskip(NEXT) | instid1(VALU_DEP_4)
	v_lshlrev_b64_e32 v[2:3], 3, v[2:3]
	v_add_co_ci_u32_e32 v1, vcc_lo, s19, v1, vcc_lo
	s_delay_alu instid0(VALU_DEP_2) | instskip(SKIP_1) | instid1(VALU_DEP_2)
	v_add_co_u32 v2, vcc_lo, v0, v2
	s_wait_alu 0xfffd
	v_add_co_ci_u32_e32 v3, vcc_lo, v1, v3, vcc_lo
	global_load_b64 v[0:1], v[2:3], off
	v_mov_b32_e32 v127, v7
	v_add_co_u32 v2, vcc_lo, v2, s2
	s_wait_alu 0xfffd
	v_add_co_ci_u32_e32 v3, vcc_lo, s3, v3, vcc_lo
	s_delay_alu instid0(VALU_DEP_3) | instskip(NEXT) | instid1(VALU_DEP_3)
	v_lshlrev_b32_e32 v246, 3, v127
	v_add_co_u32 v6, vcc_lo, v2, s2
	s_wait_alu 0xfffd
	s_delay_alu instid0(VALU_DEP_3)
	v_add_co_ci_u32_e32 v7, vcc_lo, s3, v3, vcc_lo
	s_clause 0x1
	global_load_b64 v[24:25], v246, s[8:9]
	global_load_b64 v[18:19], v246, s[8:9] offset:2400
	global_load_b64 v[4:5], v[2:3], off
	global_load_b64 v[20:21], v246, s[8:9] offset:4800
	global_load_b64 v[2:3], v[6:7], off
	v_add_co_u32 v6, vcc_lo, v6, s2
	s_wait_alu 0xfffd
	v_add_co_ci_u32_e32 v7, vcc_lo, s3, v7, vcc_lo
	global_load_b64 v[16:17], v246, s[8:9] offset:7200
	global_load_b64 v[8:9], v[6:7], off
	v_add_co_u32 v10, vcc_lo, v6, s2
	s_wait_alu 0xfffd
	v_add_co_ci_u32_e32 v11, vcc_lo, s3, v7, vcc_lo
	global_load_b64 v[22:23], v246, s[8:9] offset:9600
	global_load_b64 v[6:7], v[10:11], off
	s_clause 0x3
	global_load_b64 v[49:50], v246, s[8:9] offset:800
	global_load_b64 v[55:56], v246, s[8:9] offset:5600
	;; [unrolled: 1-line block ×4, first 2 shown]
	v_add_co_u32 v10, vcc_lo, v10, s2
	s_wait_alu 0xfffd
	v_add_co_ci_u32_e32 v11, vcc_lo, s3, v11, vcc_lo
	v_add_nc_u32_e32 v250, 0x4000, v246
	v_add_nc_u32_e32 v193, 0x800, v246
	;; [unrolled: 1-line block ×8, first 2 shown]
	s_wait_loadcnt 0xa
	v_dual_mul_f32 v13, v0, v25 :: v_dual_mul_f32 v14, v5, v19
	v_dual_mul_f32 v12, v1, v25 :: v_dual_mul_f32 v15, v4, v19
	scratch_store_b64 off, v[18:19], off offset:144 ; 8-byte Folded Spill
	s_wait_loadcnt 0x9
	scratch_store_b64 off, v[20:21], off offset:184 ; 8-byte Folded Spill
	v_fma_f32 v13, v1, v24, -v13
	s_wait_loadcnt 0x8
	v_dual_fmac_f32 v12, v0, v24 :: v_dual_mul_f32 v1, v2, v21
	v_fmac_f32_e32 v14, v4, v18
	v_mul_f32_e32 v0, v3, v21
	v_fma_f32 v15, v5, v18, -v15
	s_wait_loadcnt 0x4
	v_mul_f32_e32 v4, v6, v23
	v_fma_f32 v1, v3, v20, -v1
	v_dual_mul_f32 v3, v8, v17 :: v_dual_fmac_f32 v0, v2, v20
	v_mul_f32_e32 v2, v9, v17
	s_delay_alu instid0(VALU_DEP_4) | instskip(SKIP_1) | instid1(VALU_DEP_4)
	v_fma_f32 v5, v7, v22, -v4
	v_mul_f32_e32 v4, v7, v23
	v_fma_f32 v3, v9, v16, -v3
	scratch_store_b64 off, v[24:25], off offset:208 ; 8-byte Folded Spill
	v_fmac_f32_e32 v2, v8, v16
	s_clause 0x1
	global_load_b64 v[42:43], v246, s[8:9] offset:8000
	global_load_b64 v[38:39], v246, s[8:9] offset:8800
	scratch_store_b64 off, v[16:17], off offset:32 ; 8-byte Folded Spill
	s_clause 0x2
	global_load_b64 v[45:46], v246, s[8:9] offset:6400
	global_load_b64 v[57:58], v246, s[8:9] offset:10400
	;; [unrolled: 1-line block ×3, first 2 shown]
	scratch_store_b64 off, v[22:23], off offset:168 ; 8-byte Folded Spill
	ds_store_b64 v246, v[14:15] offset:2400
	ds_store_b64 v246, v[0:1] offset:4800
	v_fmac_f32_e32 v4, v6, v22
	global_load_b64 v[6:7], v246, s[8:9] offset:12000
	ds_store_b64 v246, v[2:3] offset:7200
	global_load_b64 v[2:3], v[10:11], off
	v_add_co_u32 v0, vcc_lo, v10, s2
	ds_store_b64 v246, v[4:5] offset:9600
	s_wait_alu 0xfffd
	v_add_co_ci_u32_e32 v1, vcc_lo, s3, v11, vcc_lo
	s_wait_loadcnt 0x1
	scratch_store_b64 off, v[6:7], off offset:24 ; 8-byte Folded Spill
	s_wait_loadcnt 0x0
	v_mul_f32_e32 v4, v3, v7
	v_mul_f32_e32 v5, v2, v7
	s_delay_alu instid0(VALU_DEP_2) | instskip(SKIP_1) | instid1(VALU_DEP_3)
	v_fmac_f32_e32 v4, v2, v6
	v_add_co_u32 v2, vcc_lo, v0, s2
	v_fma_f32 v5, v3, v6, -v5
	s_wait_alu 0xfffd
	v_add_co_ci_u32_e32 v3, vcc_lo, s3, v1, vcc_lo
	global_load_b64 v[0:1], v[0:1], off
	global_load_b64 v[8:9], v246, s[8:9] offset:14400
	s_wait_loadcnt 0x0
	v_mul_f32_e32 v6, v0, v9
	scratch_store_b64 off, v[8:9], off offset:276 ; 8-byte Folded Spill
	s_clause 0x1
	global_load_b64 v[53:54], v246, s[8:9] offset:15200
	global_load_b64 v[34:35], v246, s[8:9] offset:13600
	v_fma_f32 v7, v1, v8, -v6
	v_mul_f32_e32 v6, v1, v9
	s_delay_alu instid0(VALU_DEP_1)
	v_fmac_f32_e32 v6, v0, v8
	v_add_co_u32 v0, vcc_lo, v2, s2
	s_wait_alu 0xfffd
	v_add_co_ci_u32_e32 v1, vcc_lo, s3, v3, vcc_lo
	global_load_b64 v[2:3], v[2:3], off
	global_load_b64 v[10:11], v246, s[8:9] offset:16800
	s_wait_loadcnt 0x0
	v_mul_f32_e32 v8, v2, v11
	scratch_store_b64 off, v[10:11], off offset:16 ; 8-byte Folded Spill
	s_clause 0x2
	global_load_b64 v[32:33], v246, s[8:9] offset:17600
	global_load_b64 v[28:29], v246, s[8:9] offset:18400
	;; [unrolled: 1-line block ×3, first 2 shown]
	v_fma_f32 v9, v3, v10, -v8
	v_mul_f32_e32 v8, v3, v11
	s_delay_alu instid0(VALU_DEP_1)
	v_fmac_f32_e32 v8, v2, v10
	v_add_co_u32 v2, vcc_lo, v0, s2
	s_wait_alu 0xfffd
	v_add_co_ci_u32_e32 v3, vcc_lo, s3, v1, vcc_lo
	global_load_b64 v[0:1], v[0:1], off
	global_load_b64 v[14:15], v246, s[8:9] offset:19200
	s_wait_loadcnt 0x0
	v_mul_f32_e32 v10, v0, v15
	scratch_store_b64 off, v[14:15], off offset:284 ; 8-byte Folded Spill
	s_clause 0x2
	global_load_b64 v[51:52], v246, s[8:9] offset:20000
	global_load_b64 v[30:31], v246, s[8:9] offset:20800
	;; [unrolled: 1-line block ×3, first 2 shown]
	scratch_store_b64 off, v[49:50], off offset:200 ; 8-byte Folded Spill
	v_fma_f32 v11, v1, v14, -v10
	v_mul_f32_e32 v10, v1, v15
	s_delay_alu instid0(VALU_DEP_1)
	v_fmac_f32_e32 v10, v0, v14
	global_load_b64 v[0:1], v[2:3], off
	s_wait_loadcnt 0x1
	scratch_store_b64 off, v[16:17], off offset:8 ; 8-byte Folded Spill
	s_wait_loadcnt 0x0
	v_mul_f32_e32 v14, v0, v17
	s_delay_alu instid0(VALU_DEP_1) | instskip(SKIP_1) | instid1(VALU_DEP_1)
	v_fma_f32 v15, v1, v16, -v14
	v_mul_f32_e32 v14, v1, v17
	v_fmac_f32_e32 v14, v0, v16
	v_mad_co_u64_u32 v[0:1], null, 0xffffaec0, s12, v[2:3]
	s_delay_alu instid0(VALU_DEP_1)
	v_add_nc_u32_e32 v1, s4, v1
	global_load_b64 v[2:3], v[0:1], off
	v_add_co_u32 v0, vcc_lo, v0, s2
	s_wait_alu 0xfffd
	v_add_co_ci_u32_e32 v1, vcc_lo, s3, v1, vcc_lo
	s_wait_loadcnt 0x0
	v_mul_f32_e32 v16, v2, v50
	s_delay_alu instid0(VALU_DEP_1) | instskip(SKIP_1) | instid1(VALU_DEP_1)
	v_fma_f32 v17, v3, v49, -v16
	v_mul_f32_e32 v16, v3, v50
	v_fmac_f32_e32 v16, v2, v49
	v_add_co_u32 v2, vcc_lo, v0, s2
	ds_store_b64 v246, v[4:5] offset:12000
	ds_store_b64 v246, v[6:7] offset:14400
	;; [unrolled: 1-line block ×5, first 2 shown]
	ds_store_2addr_b64 v246, v[12:13], v[16:17] offset1:100
	s_wait_alu 0xfffd
	v_add_co_ci_u32_e32 v3, vcc_lo, s3, v1, vcc_lo
	global_load_b64 v[0:1], v[0:1], off
	global_load_b64 v[6:7], v246, s[8:9] offset:3200
	s_clause 0x6
	scratch_store_b64 off, v[42:43], off offset:96
	scratch_store_b64 off, v[38:39], off offset:104
	scratch_store_b64 off, v[40:41], off offset:112
	scratch_store_b64 off, v[26:27], off offset:136
	scratch_store_b64 off, v[45:46], off offset:152
	scratch_store_b64 off, v[55:56], off offset:216
	scratch_store_b64 off, v[57:58], off offset:236
	s_wait_loadcnt 0x0
	v_mul_f32_e32 v4, v0, v7
	scratch_store_b64 off, v[6:7], off offset:128 ; 8-byte Folded Spill
	v_fma_f32 v5, v1, v6, -v4
	v_mul_f32_e32 v4, v1, v7
	s_delay_alu instid0(VALU_DEP_1)
	v_fmac_f32_e32 v4, v0, v6
	v_add_co_u32 v0, vcc_lo, v2, s2
	s_wait_alu 0xfffd
	v_add_co_ci_u32_e32 v1, vcc_lo, s3, v3, vcc_lo
	global_load_b64 v[2:3], v[2:3], off
	v_add_co_u32 v6, vcc_lo, v0, s2
	s_wait_alu 0xfffd
	v_add_co_ci_u32_e32 v7, vcc_lo, s3, v1, vcc_lo
	global_load_b64 v[0:1], v[0:1], off
	v_add_co_u32 v8, vcc_lo, v6, s2
	s_wait_alu 0xfffd
	v_add_co_ci_u32_e32 v9, vcc_lo, s3, v7, vcc_lo
	s_delay_alu instid0(VALU_DEP_2) | instskip(SKIP_1) | instid1(VALU_DEP_2)
	v_add_co_u32 v10, vcc_lo, v8, s2
	s_wait_alu 0xfffd
	v_add_co_ci_u32_e32 v11, vcc_lo, s3, v9, vcc_lo
	s_delay_alu instid0(VALU_DEP_2) | instskip(SKIP_1) | instid1(VALU_DEP_2)
	;; [unrolled: 4-line block ×4, first 2 shown]
	v_add_co_u32 v16, vcc_lo, v14, s2
	s_wait_alu 0xfffd
	v_add_co_ci_u32_e32 v17, vcc_lo, s3, v15, vcc_lo
	s_delay_alu instid0(VALU_DEP_1) | instskip(NEXT) | instid1(VALU_DEP_1)
	v_mad_co_u64_u32 v[18:19], null, 0xffffaec0, s12, v[16:17]
	v_add_nc_u32_e32 v19, s4, v19
	s_delay_alu instid0(VALU_DEP_2) | instskip(SKIP_1) | instid1(VALU_DEP_2)
	v_add_co_u32 v20, vcc_lo, v18, s2
	s_wait_alu 0xfffd
	v_add_co_ci_u32_e32 v21, vcc_lo, s3, v19, vcc_lo
	global_load_b64 v[22:23], v[20:21], off
	s_wait_loadcnt 0x0
	v_mul_f32_e32 v24, v22, v27
	s_delay_alu instid0(VALU_DEP_1) | instskip(SKIP_1) | instid1(VALU_DEP_1)
	v_fma_f32 v24, v23, v26, -v24
	v_mul_f32_e32 v23, v23, v27
	v_fmac_f32_e32 v23, v22, v26
	ds_store_2addr_b64 v193, v[4:5], v[23:24] offset0:144 offset1:244
	v_add_co_u32 v4, vcc_lo, v20, s2
	v_mul_f32_e32 v20, v2, v56
	s_wait_alu 0xfffd
	v_add_co_ci_u32_e32 v5, vcc_lo, s3, v21, vcc_lo
	s_delay_alu instid0(VALU_DEP_2) | instskip(SKIP_1) | instid1(VALU_DEP_1)
	v_fma_f32 v21, v3, v55, -v20
	v_mul_f32_e32 v20, v3, v56
	v_fmac_f32_e32 v20, v2, v55
	global_load_b64 v[2:3], v[4:5], off
	s_wait_loadcnt 0x0
	v_mul_f32_e32 v22, v2, v46
	s_delay_alu instid0(VALU_DEP_1) | instskip(SKIP_1) | instid1(VALU_DEP_1)
	v_fma_f32 v23, v3, v45, -v22
	v_mul_f32_e32 v22, v3, v46
	v_fmac_f32_e32 v22, v2, v45
	v_add_nc_u32_e32 v2, 0x1400, v246
	ds_store_2addr_b64 v2, v[20:21], v[22:23] offset0:60 offset1:160
	v_add_co_u32 v2, vcc_lo, v4, s2
	v_mul_f32_e32 v4, v0, v43
	s_wait_alu 0xfffd
	v_add_co_ci_u32_e32 v3, vcc_lo, s3, v5, vcc_lo
	s_delay_alu instid0(VALU_DEP_2) | instskip(SKIP_1) | instid1(VALU_DEP_1)
	v_fma_f32 v5, v1, v42, -v4
	v_mul_f32_e32 v4, v1, v43
	v_fmac_f32_e32 v4, v0, v42
	global_load_b64 v[0:1], v[2:3], off
	s_wait_loadcnt 0x0
	v_mul_f32_e32 v20, v0, v39
	s_delay_alu instid0(VALU_DEP_1) | instskip(SKIP_1) | instid1(VALU_DEP_1)
	v_fma_f32 v21, v1, v38, -v20
	v_mul_f32_e32 v20, v1, v39
	v_fmac_f32_e32 v20, v0, v38
	v_add_co_u32 v0, vcc_lo, v2, s2
	s_wait_alu 0xfffd
	v_add_co_ci_u32_e32 v1, vcc_lo, s3, v3, vcc_lo
	global_load_b64 v[2:3], v[6:7], off
	ds_store_2addr_b64 v191, v[4:5], v[20:21] offset0:104 offset1:204
	global_load_b64 v[5:6], v[0:1], off
	v_add_co_u32 v0, vcc_lo, v0, s2
	s_wait_alu 0xfffd
	v_add_co_ci_u32_e32 v1, vcc_lo, s3, v1, vcc_lo
	s_wait_loadcnt 0x1
	v_mul_f32_e32 v4, v2, v58
	s_delay_alu instid0(VALU_DEP_1) | instskip(SKIP_1) | instid1(VALU_DEP_1)
	v_fma_f32 v4, v3, v57, -v4
	v_mul_f32_e32 v3, v3, v58
	v_fmac_f32_e32 v3, v2, v57
	s_wait_loadcnt 0x0
	v_mul_f32_e32 v2, v5, v41
	s_delay_alu instid0(VALU_DEP_1) | instskip(SKIP_1) | instid1(VALU_DEP_1)
	v_fma_f32 v7, v6, v40, -v2
	v_mul_f32_e32 v6, v6, v41
	v_fmac_f32_e32 v6, v5, v40
	ds_store_2addr_b64 v189, v[3:4], v[6:7] offset0:20 offset1:120
	global_load_b64 v[2:3], v[8:9], off
	global_load_b64 v[5:6], v246, s[8:9] offset:12800
	s_clause 0x5
	scratch_store_b64 off, v[34:35], off offset:88
	scratch_store_b64 off, v[36:37], off offset:64
	;; [unrolled: 1-line block ×6, first 2 shown]
	s_wait_loadcnt 0x0
	v_mul_f32_e32 v4, v2, v6
	s_clause 0x1
	scratch_store_b64 off, v[5:6], off offset:120
	scratch_store_b64 off, v[53:54], off offset:192
	v_fma_f32 v4, v3, v5, -v4
	v_mul_f32_e32 v3, v3, v6
	s_delay_alu instid0(VALU_DEP_1)
	v_fmac_f32_e32 v3, v2, v5
	global_load_b64 v[5:6], v[0:1], off
	v_add_co_u32 v0, vcc_lo, v0, s2
	s_wait_alu 0xfffd
	v_add_co_ci_u32_e32 v1, vcc_lo, s3, v1, vcc_lo
	s_wait_loadcnt 0x0
	v_mul_f32_e32 v2, v5, v35
	s_delay_alu instid0(VALU_DEP_1) | instskip(SKIP_1) | instid1(VALU_DEP_1)
	v_fma_f32 v7, v6, v34, -v2
	v_mul_f32_e32 v6, v6, v35
	v_fmac_f32_e32 v6, v5, v34
	ds_store_2addr_b64 v195, v[3:4], v[6:7] offset0:64 offset1:164
	global_load_b64 v[2:3], v[10:11], off
	global_load_b64 v[5:6], v[0:1], off
	v_add_co_u32 v0, vcc_lo, v0, s2
	s_wait_alu 0xfffd
	v_add_co_ci_u32_e32 v1, vcc_lo, s3, v1, vcc_lo
	s_wait_loadcnt 0x1
	v_mul_f32_e32 v4, v2, v54
	s_delay_alu instid0(VALU_DEP_1) | instskip(SKIP_1) | instid1(VALU_DEP_1)
	v_fma_f32 v4, v3, v53, -v4
	v_mul_f32_e32 v3, v3, v54
	v_fmac_f32_e32 v3, v2, v53
	s_wait_loadcnt 0x0
	v_mul_f32_e32 v2, v5, v37
	s_delay_alu instid0(VALU_DEP_1) | instskip(SKIP_1) | instid1(VALU_DEP_1)
	v_fma_f32 v7, v6, v36, -v2
	v_mul_f32_e32 v6, v6, v37
	v_fmac_f32_e32 v6, v5, v36
	ds_store_2addr_b64 v199, v[3:4], v[6:7] offset0:108 offset1:208
	global_load_b64 v[2:3], v[12:13], off
	global_load_b64 v[5:6], v[0:1], off
	v_add_co_u32 v0, vcc_lo, v0, s2
	s_wait_alu 0xfffd
	v_add_co_ci_u32_e32 v1, vcc_lo, s3, v1, vcc_lo
	v_add_nc_u32_e32 v13, 0x2400, v246
	s_delay_alu instid0(VALU_DEP_1) | instskip(SKIP_2) | instid1(VALU_DEP_1)
	v_mov_b32_e32 v130, v13
	s_wait_loadcnt 0x1
	v_mul_f32_e32 v4, v2, v33
	v_fma_f32 v4, v3, v32, -v4
	v_mul_f32_e32 v3, v3, v33
	s_wait_loadcnt 0x0
	s_delay_alu instid0(VALU_DEP_1) | instskip(NEXT) | instid1(VALU_DEP_1)
	v_dual_fmac_f32 v3, v2, v32 :: v_dual_mul_f32 v2, v5, v29
	v_fma_f32 v7, v6, v28, -v2
	v_mul_f32_e32 v6, v6, v29
	s_delay_alu instid0(VALU_DEP_1)
	v_fmac_f32_e32 v6, v5, v28
	ds_store_2addr_b64 v250, v[3:4], v[6:7] offset0:152 offset1:252
	global_load_b64 v[2:3], v[14:15], off
	global_load_b64 v[5:6], v[0:1], off
	v_add_co_u32 v0, vcc_lo, v0, s2
	s_wait_alu 0xfffd
	v_add_co_ci_u32_e32 v1, vcc_lo, s3, v1, vcc_lo
	v_add_nc_u32_e32 v14, 0x4800, v246
	s_delay_alu instid0(VALU_DEP_1) | instskip(SKIP_2) | instid1(VALU_DEP_1)
	v_mov_b32_e32 v131, v14
	s_wait_loadcnt 0x1
	v_mul_f32_e32 v4, v2, v52
	v_fma_f32 v4, v3, v51, -v4
	v_mul_f32_e32 v3, v3, v52
	s_delay_alu instid0(VALU_DEP_1) | instskip(SKIP_2) | instid1(VALU_DEP_1)
	v_fmac_f32_e32 v3, v2, v51
	s_wait_loadcnt 0x0
	v_mul_f32_e32 v2, v5, v31
	v_fma_f32 v7, v6, v30, -v2
	v_mul_f32_e32 v6, v6, v31
	v_add_nc_u32_e32 v2, 0x4c00, v246
	s_delay_alu instid0(VALU_DEP_2)
	v_fmac_f32_e32 v6, v5, v30
	ds_store_2addr_b64 v2, v[3:4], v[6:7] offset0:68 offset1:168
	global_load_b64 v[2:3], v[16:17], off
	s_clause 0x1
	global_load_b64 v[5:6], v246, s[8:9] offset:22400
	global_load_b64 v[7:8], v246, s[8:9] offset:23200
	global_load_b64 v[0:1], v[0:1], off
	s_load_b128 s[4:7], s[6:7], 0x0
	scratch_store_b64 off, v[47:48], off offset:160 ; 8-byte Folded Spill
	s_wait_loadcnt 0x2
	v_mul_f32_e32 v4, v2, v6
	scratch_store_b64 off, v[5:6], off offset:48 ; 8-byte Folded Spill
	s_wait_loadcnt 0x1
	scratch_store_b64 off, v[7:8], off offset:56 ; 8-byte Folded Spill
	v_fma_f32 v4, v3, v5, -v4
	v_mul_f32_e32 v3, v3, v6
	s_wait_loadcnt 0x0
	s_delay_alu instid0(VALU_DEP_1) | instskip(NEXT) | instid1(VALU_DEP_1)
	v_dual_fmac_f32 v3, v2, v5 :: v_dual_mul_f32 v2, v0, v8
	v_fma_f32 v2, v1, v7, -v2
	v_dual_mul_f32 v1, v1, v8 :: v_dual_add_nc_u32 v8, 0x1000, v246
	s_delay_alu instid0(VALU_DEP_1) | instskip(NEXT) | instid1(VALU_DEP_2)
	v_fmac_f32_e32 v1, v0, v7
	v_mov_b32_e32 v129, v8
	ds_store_2addr_b64 v211, v[3:4], v[1:2] offset0:112 offset1:212
	global_load_b64 v[0:1], v[18:19], off
	s_wait_loadcnt 0x0
	v_mul_f32_e32 v2, v0, v48
	s_delay_alu instid0(VALU_DEP_1) | instskip(SKIP_1) | instid1(VALU_DEP_1)
	v_fma_f32 v2, v1, v47, -v2
	v_mul_f32_e32 v1, v1, v48
	v_fmac_f32_e32 v1, v0, v47
	ds_store_b64 v246, v[1:2] offset:1600
	global_wb scope:SCOPE_SE
	s_wait_storecnt_dscnt 0x0
	s_wait_kmcnt 0x0
	s_barrier_signal -1
	s_barrier_wait -1
	global_inv scope:SCOPE_SE
	ds_load_2addr_b64 v[0:3], v246 offset1:100
	ds_load_2addr_b64 v[4:7], v8 offset0:88 offset1:188
	ds_load_2addr_b64 v[8:11], v13 offset0:48 offset1:148
	;; [unrolled: 1-line block ×3, first 2 shown]
	s_wait_dscnt 0x2
	v_add_f32_e32 v12, v0, v4
	s_wait_dscnt 0x1
	v_sub_f32_e32 v76, v4, v8
	s_wait_dscnt 0x0
	v_dual_add_f32 v41, v8, v36 :: v_dual_sub_f32 v28, v9, v37
	v_sub_f32_e32 v55, v8, v4
	v_dual_add_f32 v17, v12, v8 :: v_dual_add_f32 v12, v1, v5
	v_dual_add_f32 v42, v9, v37 :: v_dual_sub_f32 v29, v8, v36
	v_sub_f32_e32 v77, v5, v9
	v_sub_f32_e32 v58, v9, v5
	s_delay_alu instid0(VALU_DEP_4) | instskip(SKIP_3) | instid1(VALU_DEP_4)
	v_dual_add_f32 v23, v12, v9 :: v_dual_add_f32 v12, v2, v6
	v_add_f32_e32 v16, v10, v38
	v_sub_f32_e32 v25, v6, v10
	v_dual_sub_f32 v18, v10, v6 :: v_dual_add_f32 v19, v11, v39
	v_add_f32_e32 v24, v12, v10
	v_dual_add_f32 v12, v3, v7 :: v_dual_sub_f32 v13, v10, v38
	v_sub_f32_e32 v27, v7, v11
	v_sub_f32_e32 v20, v11, v7
	s_delay_alu instid0(VALU_DEP_3)
	v_add_f32_e32 v26, v12, v11
	v_sub_f32_e32 v12, v11, v39
	ds_load_2addr_b64 v[8:11], v14 offset0:96 offset1:196
	s_wait_dscnt 0x0
	v_dual_sub_f32 v32, v5, v9 :: v_dual_add_f32 v61, v4, v8
	v_dual_sub_f32 v33, v4, v8 :: v_dual_add_f32 v60, v5, v9
	;; [unrolled: 1-line block ×4, first 2 shown]
	v_dual_add_f32 v4, v17, v36 :: v_dual_add_f32 v5, v23, v37
	v_dual_add_f32 v6, v24, v38 :: v_dual_add_f32 v7, v26, v39
	v_add_nc_u32_e32 v23, 0x1800, v246
	v_sub_f32_e32 v89, v8, v36
	v_dual_sub_f32 v67, v36, v8 :: v_dual_sub_f32 v90, v9, v37
	v_dual_sub_f32 v68, v37, v9 :: v_dual_sub_f32 v37, v10, v38
	;; [unrolled: 1-line block ×3, first 2 shown]
	v_dual_sub_f32 v30, v39, v11 :: v_dual_add_f32 v57, v4, v8
	v_dual_add_f32 v59, v5, v9 :: v_dual_add_f32 v24, v6, v10
	v_dual_add_f32 v26, v7, v11 :: v_dual_add_nc_u32 v17, 0x5000, v246
	ds_load_2addr_b64 v[4:7], v245 offset0:72 offset1:172
	ds_load_2addr_b64 v[8:11], v23 offset0:32 offset1:132
	;; [unrolled: 1-line block ×3, first 2 shown]
	v_mov_b32_e32 v133, v23
	v_add_f32_e32 v55, v55, v67
	ds_load_2addr_b64 v[78:81], v17 offset0:40 offset1:140
	v_mov_b32_e32 v132, v17
	s_wait_dscnt 0x2
	v_add_f32_e32 v34, v6, v10
	s_wait_dscnt 0x1
	v_dual_sub_f32 v93, v10, v64 :: v_dual_sub_f32 v74, v64, v10
	v_add_f32_e32 v35, v7, v11
	s_wait_dscnt 0x0
	v_dual_sub_f32 v51, v11, v81 :: v_dual_add_f32 v72, v10, v80
	v_sub_f32_e32 v52, v10, v80
	v_sub_f32_e32 v106, v11, v65
	v_add_f32_e32 v71, v11, v81
	v_dual_sub_f32 v75, v65, v11 :: v_dual_add_f32 v10, v4, v8
	v_add_f32_e32 v11, v5, v9
	v_dual_add_f32 v43, v34, v64 :: v_dual_add_nc_u32 v34, 0x3c00, v246
	v_sub_f32_e32 v17, v9, v79
	v_sub_f32_e32 v39, v8, v62
	v_add_f32_e32 v36, v8, v78
	v_dual_sub_f32 v40, v62, v8 :: v_dual_sub_f32 v23, v8, v78
	v_add_f32_e32 v46, v9, v79
	v_sub_f32_e32 v50, v9, v63
	v_dual_sub_f32 v48, v63, v9 :: v_dual_add_f32 v49, v10, v62
	v_add_f32_e32 v54, v11, v63
	ds_load_2addr_b64 v[8:11], v34 offset0:80 offset1:180
	v_add_f32_e32 v45, v35, v65
	v_mov_b32_e32 v135, v34
	s_wait_dscnt 0x0
	v_add_f32_e32 v43, v43, v10
	s_delay_alu instid0(VALU_DEP_3)
	v_add_f32_e32 v45, v45, v11
	v_add_f32_e32 v107, v64, v10
	v_dual_add_f32 v109, v65, v11 :: v_dual_sub_f32 v110, v64, v10
	v_dual_add_f32 v47, v62, v8 :: v_dual_sub_f32 v34, v63, v9
	v_add_f32_e32 v53, v63, v9
	v_sub_f32_e32 v35, v62, v8
	v_dual_add_f32 v49, v49, v8 :: v_dual_add_f32 v64, v54, v9
	v_dual_sub_f32 v111, v80, v10 :: v_dual_sub_f32 v112, v10, v80
	v_dual_sub_f32 v113, v81, v11 :: v_dual_sub_f32 v114, v11, v81
	v_sub_f32_e32 v62, v78, v8
	v_dual_sub_f32 v56, v8, v78 :: v_dual_sub_f32 v63, v79, v9
	v_dual_sub_f32 v54, v9, v79 :: v_dual_add_f32 v115, v43, v80
	v_sub_f32_e32 v108, v65, v11
	v_add_f32_e32 v116, v45, v81
	ds_load_2addr_b64 v[8:11], v193 offset0:144 offset1:244
	ds_load_2addr_b64 v[80:83], v191 offset0:104 offset1:204
	ds_load_2addr_b64 v[94:97], v211 offset0:112 offset1:212
	ds_load_2addr_b64 v[98:101], v195 offset0:64 offset1:164
	ds_load_2addr_b64 v[102:105], v250 offset0:152 offset1:252
	v_add_f32_e32 v43, v49, v78
	v_add_f32_e32 v45, v64, v79
	;; [unrolled: 1-line block ×3, first 2 shown]
	global_wb scope:SCOPE_SE
	s_wait_dscnt 0x0
	s_barrier_signal -1
	s_barrier_wait -1
	global_inv scope:SCOPE_SE
	v_add_f32_e32 v65, v8, v80
	v_add_f32_e32 v118, v80, v94
	v_sub_f32_e32 v117, v80, v98
	v_dual_sub_f32 v119, v98, v80 :: v_dual_add_f32 v66, v9, v81
	v_dual_sub_f32 v87, v80, v94 :: v_dual_add_f32 v80, v11, v83
	v_add_f32_e32 v78, v10, v82
	v_add_f32_e32 v70, v82, v96
	s_delay_alu instid0(VALU_DEP_4) | instskip(NEXT) | instid1(VALU_DEP_4)
	v_add_f32_e32 v88, v66, v99
	v_dual_sub_f32 v69, v82, v100 :: v_dual_add_f32 v80, v80, v101
	v_dual_sub_f32 v73, v100, v82 :: v_dual_sub_f32 v64, v82, v96
	v_dual_sub_f32 v79, v83, v101 :: v_dual_sub_f32 v82, v101, v83
	v_add_f32_e32 v86, v65, v98
	v_add_f32_e32 v78, v78, v100
	v_sub_f32_e32 v66, v101, v105
	v_dual_add_f32 v84, v101, v105 :: v_dual_add_f32 v101, v88, v103
	v_add_f32_e32 v80, v80, v105
	v_sub_f32_e32 v91, v105, v97
	v_sub_f32_e32 v88, v97, v105
	v_fma_f32 v105, -0.5, v61, v0
	v_sub_f32_e32 v85, v81, v95
	v_dual_sub_f32 v121, v81, v99 :: v_dual_sub_f32 v122, v99, v81
	v_sub_f32_e32 v49, v83, v97
	v_sub_f32_e32 v65, v100, v104
	v_add_f32_e32 v78, v78, v104
	v_sub_f32_e32 v92, v104, v96
	v_fma_f32 v61, -0.5, v71, v7
	v_dual_add_f32 v120, v81, v95 :: v_dual_add_f32 v81, v83, v97
	v_add_f32_e32 v83, v100, v104
	v_fma_f32 v0, -0.5, v41, v0
	v_mul_lo_u16 v41, v44, 10
	v_add_f32_e32 v100, v86, v102
	v_sub_f32_e32 v86, v96, v104
	v_add_f32_e32 v104, v106, v113
	v_fmamk_f32 v106, v28, 0xbf737871, v105
	v_fmac_f32_e32 v105, 0x3f737871, v28
	v_fma_f32 v7, -0.5, v109, v7
	v_dual_sub_f32 v125, v94, v102 :: v_dual_sub_f32 v124, v99, v103
	s_delay_alu instid0(VALU_DEP_4) | instskip(NEXT) | instid1(VALU_DEP_4)
	v_fmac_f32_e32 v106, 0x3f167918, v32
	v_fmac_f32_e32 v105, 0xbf167918, v32
	s_delay_alu instid0(VALU_DEP_4) | instskip(SKIP_1) | instid1(VALU_DEP_4)
	v_fmamk_f32 v71, v52, 0xbf737871, v7
	v_dual_fmac_f32 v7, 0x3f737871, v52 :: v_dual_add_f32 v80, v80, v97
	v_fmac_f32_e32 v106, 0x3e9e377a, v55
	s_delay_alu instid0(VALU_DEP_4) | instskip(SKIP_4) | instid1(VALU_DEP_4)
	v_fmac_f32_e32 v105, 0x3e9e377a, v55
	v_fma_f32 v55, -0.5, v60, v1
	v_add_f32_e32 v97, v93, v111
	v_fmac_f32_e32 v7, 0x3f167918, v110
	v_dual_add_f32 v90, v77, v90 :: v_dual_add_f32 v99, v99, v103
	v_fmamk_f32 v111, v29, 0x3f737871, v55
	v_fmac_f32_e32 v55, 0xbf737871, v29
	s_delay_alu instid0(VALU_DEP_4)
	v_fmac_f32_e32 v7, 0x3e9e377a, v104
	v_add_f32_e32 v58, v58, v68
	v_add_f32_e32 v67, v74, v112
	v_fmac_f32_e32 v111, 0xbf167918, v33
	v_fmac_f32_e32 v55, 0x3f167918, v33
	v_add_f32_e32 v101, v101, v95
	v_fmac_f32_e32 v71, 0xbf167918, v110
	v_add_f32_e32 v123, v98, v102
	v_fmac_f32_e32 v111, 0x3e9e377a, v58
	v_fmac_f32_e32 v55, 0x3e9e377a, v58
	v_fma_f32 v58, -0.5, v72, v6
	v_add_f32_e32 v68, v75, v114
	v_fma_f32 v6, -0.5, v107, v6
	v_fmac_f32_e32 v71, 0x3e9e377a, v104
	v_fma_f32 v1, -0.5, v42, v1
	v_fmamk_f32 v60, v108, 0xbf737871, v58
	v_fmac_f32_e32 v58, 0x3f737871, v108
	v_fmamk_f32 v42, v32, 0x3f737871, v0
	v_fmac_f32_e32 v0, 0xbf737871, v32
	v_and_b32_e32 v41, 0xffff, v41
	v_fmac_f32_e32 v60, 0x3f167918, v51
	v_fmac_f32_e32 v58, 0xbf167918, v51
	v_add_f32_e32 v100, v100, v94
	v_fmac_f32_e32 v42, 0x3f167918, v28
	v_fmac_f32_e32 v0, 0xbf167918, v28
	;; [unrolled: 1-line block ×4, first 2 shown]
	v_fmamk_f32 v67, v110, 0x3f737871, v61
	v_fmac_f32_e32 v61, 0xbf737871, v110
	v_fmac_f32_e32 v42, 0x3e9e377a, v89
	v_dual_mul_f32 v107, 0xbf737871, v60 :: v_dual_add_f32 v74, v57, v115
	s_delay_alu instid0(VALU_DEP_4) | instskip(NEXT) | instid1(VALU_DEP_4)
	v_fmac_f32_e32 v67, 0xbf167918, v52
	v_fmac_f32_e32 v61, 0x3f167918, v52
	v_dual_add_f32 v75, v59, v116 :: v_dual_fmac_f32 v0, 0x3e9e377a, v89
	v_fma_f32 v32, -0.5, v99, v9
	s_delay_alu instid0(VALU_DEP_4) | instskip(NEXT) | instid1(VALU_DEP_4)
	v_fmac_f32_e32 v67, 0x3e9e377a, v68
	v_fmac_f32_e32 v61, 0x3e9e377a, v68
	v_fmamk_f32 v68, v51, 0x3f737871, v6
	v_fmac_f32_e32 v6, 0xbf737871, v51
	s_delay_alu instid0(VALU_DEP_4) | instskip(NEXT) | instid1(VALU_DEP_4)
	v_dual_sub_f32 v98, v98, v102 :: v_dual_fmac_f32 v107, 0x3e9e377a, v67
	v_mul_f32_e32 v109, 0xbe9e377a, v61
	s_delay_alu instid0(VALU_DEP_4) | instskip(NEXT) | instid1(VALU_DEP_4)
	v_fmac_f32_e32 v68, 0x3f167918, v108
	v_fmac_f32_e32 v6, 0xbf167918, v108
	v_lshlrev_b32_e32 v230, 3, v41
	v_sub_f32_e32 v102, v102, v94
	v_fmac_f32_e32 v109, 0xbf737871, v58
	v_fmac_f32_e32 v68, 0x3e9e377a, v97
	v_fmac_f32_e32 v6, 0x3e9e377a, v97
	v_add_f32_e32 v94, v111, v107
	s_delay_alu instid0(VALU_DEP_3) | instskip(SKIP_1) | instid1(VALU_DEP_4)
	v_mul_f32_e32 v72, 0x3f4f1bbd, v68
	v_mul_f32_e32 v68, 0xbf167918, v68
	v_mul_f32_e32 v28, 0xbf4f1bbd, v6
	s_delay_alu instid0(VALU_DEP_3) | instskip(NEXT) | instid1(VALU_DEP_3)
	v_fmac_f32_e32 v72, 0x3f167918, v71
	v_fmac_f32_e32 v68, 0x3f4f1bbd, v71
	v_mul_f32_e32 v71, 0x3f737871, v67
	v_mul_f32_e32 v67, 0xbe9e377a, v58
	v_fmamk_f32 v58, v33, 0xbf737871, v1
	v_fmac_f32_e32 v1, 0x3f737871, v33
	v_fmac_f32_e32 v28, 0x3f167918, v7
	v_mul_f32_e32 v7, 0xbf4f1bbd, v7
	v_fmac_f32_e32 v67, 0x3f737871, v61
	v_fmac_f32_e32 v58, 0xbf167918, v29
	;; [unrolled: 1-line block ×4, first 2 shown]
	v_dual_add_f32 v76, v42, v72 :: v_dual_fmac_f32 v7, 0xbf167918, v6
	s_delay_alu instid0(VALU_DEP_4) | instskip(SKIP_3) | instid1(VALU_DEP_4)
	v_fmac_f32_e32 v58, 0x3e9e377a, v90
	v_sub_f32_e32 v126, v103, v95
	v_sub_f32_e32 v103, v95, v103
	v_dual_add_f32 v95, v105, v67 :: v_dual_add_f32 v78, v78, v96
	v_add_f32_e32 v77, v58, v68
	v_fmac_f32_e32 v1, 0x3e9e377a, v90
	v_dual_add_f32 v93, v106, v71 :: v_dual_add_f32 v96, v55, v109
	ds_store_b128 v230, v[74:77]
	ds_store_b128 v230, v[93:96] offset:16
	v_dual_sub_f32 v60, v57, v115 :: v_dual_sub_f32 v61, v59, v116
	v_sub_f32_e32 v75, v58, v68
	v_add_f32_e32 v59, v1, v7
	v_fma_f32 v29, -0.5, v123, v8
	v_add_f32_e32 v58, v0, v28
	v_sub_f32_e32 v74, v42, v72
	v_sub_f32_e32 v76, v106, v71
	;; [unrolled: 1-line block ×3, first 2 shown]
	ds_store_b128 v230, v[58:61] offset:32
	ds_store_b128 v230, v[74:77] offset:48
	v_dual_sub_f32 v59, v0, v28 :: v_dual_fmamk_f32 v0, v85, 0x3f737871, v29
	v_dual_fmac_f32 v29, 0xbf737871, v85 :: v_dual_sub_f32 v60, v1, v7
	v_add_f32_e32 v1, v25, v37
	v_add_f32_e32 v25, v27, v38
	;; [unrolled: 1-line block ×3, first 2 shown]
	s_delay_alu instid0(VALU_DEP_4) | instskip(SKIP_3) | instid1(VALU_DEP_4)
	v_fmac_f32_e32 v29, 0xbf167918, v124
	v_fmac_f32_e32 v0, 0x3f167918, v124
	v_fmamk_f32 v6, v87, 0xbf737871, v32
	v_dual_fmac_f32 v32, 0x3f737871, v87 :: v_dual_add_f32 v7, v119, v102
	v_fmac_f32_e32 v29, 0x3e9e377a, v27
	s_delay_alu instid0(VALU_DEP_4) | instskip(NEXT) | instid1(VALU_DEP_3)
	v_fmac_f32_e32 v0, 0x3e9e377a, v27
	v_dual_sub_f32 v57, v105, v67 :: v_dual_fmac_f32 v32, 0x3f167918, v98
	s_delay_alu instid0(VALU_DEP_2)
	v_mul_f32_e32 v33, 0x3f4f1bbd, v0
	v_dual_mul_f32 v37, 0xbf167918, v0 :: v_dual_add_f32 v0, v18, v31
	v_fma_f32 v31, -0.5, v19, v3
	v_dual_sub_f32 v58, v55, v109 :: v_dual_fmac_f32 v3, -0.5, v22
	v_fma_f32 v22, -0.5, v21, v2
	v_fma_f32 v2, -0.5, v16, v2
	s_delay_alu instid0(VALU_DEP_4)
	v_fmamk_f32 v55, v15, 0xbf737871, v31
	v_fmac_f32_e32 v31, 0x3f737871, v15
	v_fmamk_f32 v38, v13, 0x3f737871, v3
	v_fmac_f32_e32 v3, 0xbf737871, v13
	;; [unrolled: 2-line block ×3, first 2 shown]
	v_dual_fmac_f32 v31, 0x3f167918, v13 :: v_dual_add_f32 v28, v121, v103
	v_fmac_f32_e32 v38, 0xbf167918, v15
	s_delay_alu instid0(VALU_DEP_4) | instskip(NEXT) | instid1(VALU_DEP_4)
	v_fmac_f32_e32 v16, 0x3f167918, v12
	v_fmac_f32_e32 v2, 0xbf167918, v12
	s_delay_alu instid0(VALU_DEP_4) | instskip(SKIP_4) | instid1(VALU_DEP_4)
	v_fmac_f32_e32 v31, 0x3e9e377a, v25
	v_fmac_f32_e32 v6, 0xbf167918, v98
	;; [unrolled: 1-line block ×4, first 2 shown]
	v_dual_fmac_f32 v32, 0x3e9e377a, v28 :: v_dual_add_f32 v15, v50, v63
	v_fmac_f32_e32 v6, 0x3e9e377a, v28
	v_fmac_f32_e32 v2, 0x3e9e377a, v1
	v_mul_f32_e32 v1, 0xbf4f1bbd, v29
	v_fma_f32 v28, -0.5, v47, v4
	v_fmac_f32_e32 v55, 0xbf167918, v13
	v_fmac_f32_e32 v33, 0x3f167918, v6
	;; [unrolled: 1-line block ×3, first 2 shown]
	v_add_f32_e32 v6, v20, v30
	v_fmamk_f32 v30, v12, 0xbf737871, v22
	v_fmac_f32_e32 v22, 0x3f737871, v12
	v_fmac_f32_e32 v1, 0x3f167918, v32
	v_mul_f32_e32 v12, 0xbf4f1bbd, v32
	v_fmac_f32_e32 v38, 0x3e9e377a, v6
	v_fmac_f32_e32 v30, 0x3f167918, v14
	;; [unrolled: 1-line block ×5, first 2 shown]
	v_dual_add_f32 v14, v39, v62 :: v_dual_fmamk_f32 v29, v17, 0x3f737871, v28
	v_fmac_f32_e32 v30, 0x3e9e377a, v0
	v_fmac_f32_e32 v22, 0x3e9e377a, v0
	v_fma_f32 v0, -0.5, v118, v8
	v_fma_f32 v8, -0.5, v120, v9
	v_fmac_f32_e32 v29, 0x3f167918, v34
	v_fmac_f32_e32 v55, 0x3e9e377a, v25
	;; [unrolled: 1-line block ×3, first 2 shown]
	v_fmamk_f32 v6, v124, 0xbf737871, v0
	v_fmac_f32_e32 v0, 0x3f737871, v124
	v_fmamk_f32 v9, v98, 0x3f737871, v8
	v_fmac_f32_e32 v8, 0xbf737871, v98
	v_fmac_f32_e32 v29, 0x3e9e377a, v14
	;; [unrolled: 1-line block ×3, first 2 shown]
	s_delay_alu instid0(VALU_DEP_4) | instskip(NEXT) | instid1(VALU_DEP_4)
	v_dual_fmac_f32 v0, 0xbf167918, v85 :: v_dual_fmac_f32 v9, 0xbf167918, v87
	v_fmac_f32_e32 v8, 0x3f167918, v87
	ds_store_b128 v230, v[57:60] offset:64
	v_fmac_f32_e32 v6, 0x3e9e377a, v7
	v_dual_fmac_f32 v0, 0x3e9e377a, v7 :: v_dual_add_f32 v7, v122, v126
	v_fmac_f32_e32 v28, 0xbf167918, v34
	s_delay_alu instid0(VALU_DEP_3) | instskip(NEXT) | instid1(VALU_DEP_3)
	v_mul_f32_e32 v42, 0xbf737871, v6
	v_mul_f32_e32 v51, 0xbe9e377a, v0
	s_delay_alu instid0(VALU_DEP_4) | instskip(SKIP_2) | instid1(VALU_DEP_3)
	v_fmac_f32_e32 v8, 0x3e9e377a, v7
	v_fmac_f32_e32 v9, 0x3e9e377a, v7
	v_dual_add_f32 v7, v26, v101 :: v_dual_fmac_f32 v28, 0x3e9e377a, v14
	v_mul_f32_e32 v52, 0xbe9e377a, v8
	s_delay_alu instid0(VALU_DEP_3) | instskip(SKIP_2) | instid1(VALU_DEP_4)
	v_mul_f32_e32 v41, 0x3f737871, v9
	v_fmac_f32_e32 v42, 0x3e9e377a, v9
	v_dual_fmac_f32 v51, 0x3f737871, v8 :: v_dual_add_f32 v8, v16, v33
	v_fmac_f32_e32 v52, 0xbf737871, v0
	v_add_co_u32 v0, null, 0x64, v127
	v_dual_fmac_f32 v41, 0x3e9e377a, v6 :: v_dual_add_f32 v6, v24, v100
	v_add_f32_e32 v9, v55, v37
	s_delay_alu instid0(VALU_DEP_3) | instskip(SKIP_2) | instid1(VALU_DEP_3)
	v_mul_u32_u24_e32 v18, 10, v0
	v_add_f32_e32 v20, v22, v51
	v_add_f32_e32 v19, v38, v42
	v_dual_add_f32 v21, v3, v52 :: v_dual_lshlrev_b32 v232, 3, v18
	v_add_f32_e32 v18, v30, v41
	ds_store_b128 v232, v[6:9]
	ds_store_b128 v232, v[18:21] offset:16
	v_dual_sub_f32 v8, v24, v100 :: v_dual_sub_f32 v9, v26, v101
	v_dual_add_f32 v6, v2, v1 :: v_dual_add_f32 v7, v31, v12
	v_sub_f32_e32 v18, v16, v33
	v_sub_f32_e32 v20, v30, v41
	;; [unrolled: 1-line block ×4, first 2 shown]
	ds_store_b128 v232, v[6:9] offset:32
	ds_store_b128 v232, v[18:21] offset:48
	v_fma_f32 v21, -0.5, v53, v5
	v_sub_f32_e32 v7, v3, v52
	v_sub_f32_e32 v9, v31, v12
	v_fma_f32 v3, -0.5, v70, v10
	v_fma_f32 v10, -0.5, v83, v10
	v_fmamk_f32 v30, v23, 0xbf737871, v21
	v_fmac_f32_e32 v21, 0x3f737871, v23
	v_dual_fmac_f32 v5, -0.5, v46 :: v_dual_sub_f32 v6, v22, v51
	v_fma_f32 v12, -0.5, v84, v11
	v_fmac_f32_e32 v11, -0.5, v81
	s_delay_alu instid0(VALU_DEP_4) | instskip(SKIP_3) | instid1(VALU_DEP_4)
	v_dual_fmac_f32 v21, 0x3f167918, v35 :: v_dual_add_f32 v16, v69, v86
	v_fma_f32 v22, -0.5, v36, v4
	v_add_f32_e32 v18, v79, v88
	v_fmamk_f32 v25, v35, 0x3f737871, v5
	v_dual_fmac_f32 v21, 0x3e9e377a, v15 :: v_dual_sub_f32 v8, v2, v1
	v_dual_add_f32 v1, v73, v92 :: v_dual_add_f32 v2, v82, v91
	v_fmamk_f32 v24, v34, 0xbf737871, v22
	v_fmac_f32_e32 v22, 0x3f737871, v34
	ds_store_b128 v232, v[6:9] offset:64
	v_fmamk_f32 v6, v66, 0xbf737871, v3
	v_dual_fmac_f32 v3, 0x3f737871, v66 :: v_dual_fmamk_f32 v8, v49, 0x3f737871, v10
	v_fmamk_f32 v7, v65, 0x3f737871, v11
	v_fmac_f32_e32 v10, 0xbf737871, v49
	v_fmac_f32_e32 v11, 0xbf737871, v65
	s_delay_alu instid0(VALU_DEP_4)
	v_fmac_f32_e32 v3, 0xbf167918, v49
	v_fmac_f32_e32 v8, 0x3f167918, v66
	v_fmamk_f32 v9, v64, 0xbf737871, v12
	v_fmac_f32_e32 v7, 0xbf167918, v64
	v_fmac_f32_e32 v12, 0x3f737871, v64
	;; [unrolled: 1-line block ×4, first 2 shown]
	v_dual_fmac_f32 v3, 0x3e9e377a, v1 :: v_dual_fmac_f32 v8, 0x3e9e377a, v16
	v_fmac_f32_e32 v6, 0x3f167918, v49
	v_fmac_f32_e32 v9, 0xbf167918, v65
	;; [unrolled: 1-line block ×4, first 2 shown]
	v_dual_fmac_f32 v10, 0x3e9e377a, v16 :: v_dual_fmac_f32 v11, 0x3e9e377a, v2
	v_mul_f32_e32 v13, 0xbe9e377a, v3
	v_mul_f32_e32 v19, 0x3f4f1bbd, v8
	;; [unrolled: 1-line block ×3, first 2 shown]
	v_add_f32_e32 v8, v40, v56
	v_fmac_f32_e32 v24, 0x3f167918, v17
	v_fmac_f32_e32 v22, 0xbf167918, v17
	;; [unrolled: 1-line block ×3, first 2 shown]
	v_dual_fmac_f32 v6, 0x3e9e377a, v1 :: v_dual_fmac_f32 v9, 0x3e9e377a, v18
	v_mul_f32_e32 v26, 0x3f737871, v7
	v_fmac_f32_e32 v30, 0xbf167918, v35
	v_add_co_u32 v52, null, 0xc8, v127
	v_fmac_f32_e32 v12, 0x3e9e377a, v18
	v_mul_f32_e32 v14, 0xbf4f1bbd, v10
	v_fmac_f32_e32 v13, 0x3f737871, v11
	v_mul_f32_e32 v11, 0xbe9e377a, v11
	v_fmac_f32_e32 v24, 0x3e9e377a, v8
	v_fmac_f32_e32 v22, 0x3e9e377a, v8
	v_dual_add_f32 v8, v48, v54 :: v_dual_and_b32 v53, 0xffff, v52
	v_fmac_f32_e32 v25, 0xbf167918, v23
	v_fmac_f32_e32 v5, 0x3f167918, v23
	v_mul_f32_e32 v27, 0xbf737871, v6
	v_fmac_f32_e32 v19, 0x3f167918, v9
	v_fmac_f32_e32 v20, 0x3f4f1bbd, v9
	v_fmac_f32_e32 v26, 0x3e9e377a, v6
	v_fmac_f32_e32 v30, 0x3e9e377a, v15
	v_mul_u32_u24_e32 v6, 10, v52
	v_fmac_f32_e32 v14, 0x3f167918, v12
	v_mul_f32_e32 v12, 0xbf4f1bbd, v12
	v_fmac_f32_e32 v25, 0x3e9e377a, v8
	v_fmac_f32_e32 v5, 0x3e9e377a, v8
	;; [unrolled: 1-line block ×4, first 2 shown]
	v_add_f32_e32 v1, v43, v78
	v_add_f32_e32 v3, v29, v19
	;; [unrolled: 1-line block ×3, first 2 shown]
	v_dual_add_f32 v4, v30, v20 :: v_dual_lshlrev_b32 v249, 3, v6
	v_fmac_f32_e32 v12, 0xbf167918, v10
	v_add_f32_e32 v6, v24, v26
	v_dual_add_f32 v8, v22, v13 :: v_dual_add_f32 v7, v25, v27
	v_add_f32_e32 v9, v5, v11
	ds_store_b128 v249, v[1:4]
	ds_store_b128 v249, v[6:9] offset:16
	v_dual_sub_f32 v3, v43, v78 :: v_dual_sub_f32 v4, v45, v80
	v_dual_add_f32 v1, v28, v14 :: v_dual_add_f32 v2, v21, v12
	v_sub_f32_e32 v6, v29, v19
	v_dual_sub_f32 v8, v24, v26 :: v_dual_sub_f32 v7, v30, v20
	v_sub_f32_e32 v9, v25, v27
	ds_store_b128 v249, v[1:4] offset:32
	ds_store_b128 v249, v[6:9] offset:48
	v_dual_sub_f32 v2, v5, v11 :: v_dual_sub_f32 v1, v22, v13
	v_dual_sub_f32 v3, v28, v14 :: v_dual_sub_f32 v4, v21, v12
	v_mov_b32_e32 v35, v133
	v_mov_b32_e32 v33, v135
	ds_store_b128 v249, v[1:4] offset:64
	v_and_b32_e32 v2, 0xff, v44
	global_wb scope:SCOPE_SE
	s_wait_dscnt 0x0
	s_barrier_signal -1
	s_barrier_wait -1
	global_inv scope:SCOPE_SE
	v_mul_lo_u16 v1, 0xcd, v2
	s_delay_alu instid0(VALU_DEP_1) | instskip(SKIP_1) | instid1(VALU_DEP_2)
	v_lshrrev_b16 v4, 11, v1
	v_and_b32_e32 v1, 0xff, v0
	v_mul_lo_u16 v5, v4, 10
	s_delay_alu instid0(VALU_DEP_2) | instskip(SKIP_1) | instid1(VALU_DEP_3)
	v_mul_lo_u16 v3, 0xcd, v1
	v_mul_lo_u16 v1, 0x89, v1
	v_sub_nc_u16 v5, v44, v5
	s_delay_alu instid0(VALU_DEP_3) | instskip(NEXT) | instid1(VALU_DEP_2)
	v_lshrrev_b16 v3, 11, v3
	v_and_b32_e32 v46, 0xff, v5
	s_delay_alu instid0(VALU_DEP_2) | instskip(SKIP_1) | instid1(VALU_DEP_2)
	v_mul_lo_u16 v6, v3, 10
	v_and_b32_e32 v3, 0xffff, v3
	v_sub_nc_u16 v6, v0, v6
	s_delay_alu instid0(VALU_DEP_2) | instskip(NEXT) | instid1(VALU_DEP_2)
	v_mul_u32_u24_e32 v3, 30, v3
	v_and_b32_e32 v5, 0xff, v6
	v_lshlrev_b32_e32 v6, 4, v46
	s_delay_alu instid0(VALU_DEP_2)
	v_lshlrev_b32_e32 v7, 4, v5
	s_clause 0x1
	global_load_b128 v[225:228], v6, s[10:11]
	global_load_b128 v[233:236], v7, s[10:11]
	ds_load_2addr_b64 v[12:15], v191 offset0:104 offset1:204
	v_add_lshl_u32 v5, v3, v5, 3
	s_wait_loadcnt_dscnt 0x100
	v_mul_f32_e32 v6, v13, v226
	v_mul_f32_e32 v8, v12, v226
	s_wait_loadcnt 0x0
	v_mul_f32_e32 v88, v14, v234
	s_delay_alu instid0(VALU_DEP_3) | instskip(SKIP_2) | instid1(VALU_DEP_4)
	v_fma_f32 v16, v12, v225, -v6
	v_mul_f32_e32 v6, v15, v234
	v_fmac_f32_e32 v8, v13, v225
	v_fmac_f32_e32 v88, v15, v233
	s_delay_alu instid0(VALU_DEP_3)
	v_fma_f32 v85, v14, v233, -v6
	ds_load_2addr_b64 v[12:15], v135 offset0:80 offset1:180
	s_wait_dscnt 0x0
	v_mul_f32_e32 v6, v13, v228
	v_mul_f32_e32 v9, v12, v228
	;; [unrolled: 1-line block ×3, first 2 shown]
	s_delay_alu instid0(VALU_DEP_3) | instskip(NEXT) | instid1(VALU_DEP_3)
	v_fma_f32 v17, v12, v227, -v6
	v_dual_mul_f32 v6, v15, v236 :: v_dual_fmac_f32 v9, v13, v227
	s_delay_alu instid0(VALU_DEP_3) | instskip(NEXT) | instid1(VALU_DEP_3)
	v_fmac_f32_e32 v93, v15, v235
	v_sub_f32_e32 v15, v16, v17
	s_delay_alu instid0(VALU_DEP_3) | instskip(SKIP_1) | instid1(VALU_DEP_1)
	v_fma_f32 v91, v14, v235, -v6
	v_add_co_u32 v6, null, 0x12c, v127
	v_and_b32_e32 v7, 0xffff, v6
	s_delay_alu instid0(VALU_DEP_1) | instskip(NEXT) | instid1(VALU_DEP_1)
	v_mul_u32_u24_e32 v7, 0xcccd, v7
	v_lshrrev_b32_e32 v70, 19, v7
	s_delay_alu instid0(VALU_DEP_1) | instskip(NEXT) | instid1(VALU_DEP_1)
	v_mul_lo_u16 v7, v70, 10
	v_sub_nc_u16 v71, v6, v7
	v_mul_u32_u24_e32 v6, 0xcccd, v53
	s_delay_alu instid0(VALU_DEP_2) | instskip(NEXT) | instid1(VALU_DEP_2)
	v_lshlrev_b16 v7, 1, v71
	v_lshrrev_b32_e32 v80, 19, v6
	s_delay_alu instid0(VALU_DEP_2) | instskip(NEXT) | instid1(VALU_DEP_2)
	v_and_b32_e32 v7, 0xffff, v7
	v_mul_lo_u16 v6, v80, 10
	s_delay_alu instid0(VALU_DEP_2) | instskip(NEXT) | instid1(VALU_DEP_2)
	v_lshlrev_b32_e32 v7, 3, v7
	v_sub_nc_u16 v81, v52, v6
	s_delay_alu instid0(VALU_DEP_1) | instskip(NEXT) | instid1(VALU_DEP_1)
	v_lshlrev_b16 v6, 1, v81
	v_and_b32_e32 v6, 0xffff, v6
	s_delay_alu instid0(VALU_DEP_1)
	v_lshlrev_b32_e32 v6, 3, v6
	s_clause 0x1
	global_load_b128 v[217:220], v6, s[10:11]
	global_load_b128 v[221:224], v7, s[10:11]
	ds_load_2addr_b64 v[20:23], v130 offset0:48 offset1:148
	s_wait_loadcnt_dscnt 0x100
	v_mul_f32_e32 v6, v21, v218
	v_mul_f32_e32 v94, v20, v218
	s_wait_loadcnt 0x0
	v_mul_f32_e32 v78, v22, v222
	s_delay_alu instid0(VALU_DEP_3) | instskip(SKIP_1) | instid1(VALU_DEP_3)
	v_fma_f32 v90, v20, v217, -v6
	v_mul_f32_e32 v6, v23, v222
	v_fmac_f32_e32 v78, v23, v221
	s_delay_alu instid0(VALU_DEP_2)
	v_fma_f32 v76, v22, v221, -v6
	v_fmac_f32_e32 v94, v21, v217
	ds_load_2addr_b64 v[20:23], v250 offset0:152 offset1:252
	s_wait_dscnt 0x0
	v_mul_f32_e32 v6, v21, v220
	v_mul_f32_e32 v97, v20, v220
	;; [unrolled: 1-line block ×3, first 2 shown]
	s_delay_alu instid0(VALU_DEP_3) | instskip(NEXT) | instid1(VALU_DEP_3)
	v_fma_f32 v96, v20, v219, -v6
	v_dual_mul_f32 v6, v23, v224 :: v_dual_fmac_f32 v97, v21, v219
	s_delay_alu instid0(VALU_DEP_1) | instskip(SKIP_1) | instid1(VALU_DEP_1)
	v_fma_f32 v82, v22, v223, -v6
	v_add_co_u32 v6, null, 0x190, v127
	v_and_b32_e32 v7, 0xffff, v6
	s_delay_alu instid0(VALU_DEP_1) | instskip(NEXT) | instid1(VALU_DEP_1)
	v_mul_u32_u24_e32 v7, 0xcccd, v7
	v_lshrrev_b32_e32 v74, 19, v7
	s_delay_alu instid0(VALU_DEP_1) | instskip(NEXT) | instid1(VALU_DEP_1)
	v_mul_lo_u16 v7, v74, 10
	v_sub_nc_u16 v75, v6, v7
	v_add_co_u32 v6, null, 0x1f4, v127
	s_delay_alu instid0(VALU_DEP_1) | instskip(NEXT) | instid1(VALU_DEP_1)
	v_and_b32_e32 v7, 0xffff, v6
	v_mul_u32_u24_e32 v7, 0xcccd, v7
	s_delay_alu instid0(VALU_DEP_1) | instskip(NEXT) | instid1(VALU_DEP_1)
	v_lshrrev_b32_e32 v72, 19, v7
	v_mul_lo_u16 v7, v72, 10
	s_delay_alu instid0(VALU_DEP_1) | instskip(SKIP_1) | instid1(VALU_DEP_2)
	v_sub_nc_u16 v73, v6, v7
	v_lshlrev_b16 v6, 1, v75
	v_lshlrev_b16 v7, 1, v73
	s_delay_alu instid0(VALU_DEP_2) | instskip(NEXT) | instid1(VALU_DEP_2)
	v_and_b32_e32 v6, 0xffff, v6
	v_and_b32_e32 v7, 0xffff, v7
	s_delay_alu instid0(VALU_DEP_2) | instskip(NEXT) | instid1(VALU_DEP_2)
	v_lshlrev_b32_e32 v6, 3, v6
	v_lshlrev_b32_e32 v7, 3, v7
	s_clause 0x1
	global_load_b128 v[205:208], v6, s[10:11]
	global_load_b128 v[213:216], v7, s[10:11]
	ds_load_2addr_b64 v[28:31], v189 offset0:120 offset1:220
	s_wait_loadcnt_dscnt 0x100
	v_mul_f32_e32 v6, v29, v206
	v_mul_f32_e32 v89, v28, v206
	s_wait_loadcnt 0x0
	v_mul_f32_e32 v79, v30, v214
	s_delay_alu instid0(VALU_DEP_3) | instskip(NEXT) | instid1(VALU_DEP_3)
	v_fma_f32 v84, v28, v205, -v6
	v_dual_mul_f32 v6, v31, v214 :: v_dual_fmac_f32 v89, v29, v205
	s_delay_alu instid0(VALU_DEP_3) | instskip(NEXT) | instid1(VALU_DEP_2)
	v_fmac_f32_e32 v79, v31, v213
	v_fma_f32 v77, v30, v213, -v6
	ds_load_2addr_b64 v[28:31], v131 offset0:96 offset1:196
	s_wait_dscnt 0x0
	v_mul_f32_e32 v6, v29, v208
	v_mul_f32_e32 v87, v30, v216
	;; [unrolled: 1-line block ×3, first 2 shown]
	s_delay_alu instid0(VALU_DEP_3) | instskip(SKIP_1) | instid1(VALU_DEP_4)
	v_fma_f32 v92, v28, v207, -v6
	v_mul_f32_e32 v6, v31, v216
	v_fmac_f32_e32 v87, v31, v215
	v_mov_b32_e32 v31, v130
	v_fmac_f32_e32 v95, v29, v207
	v_mov_b32_e32 v29, v131
	v_fma_f32 v83, v30, v215, -v6
	v_add_co_u32 v6, null, 0x258, v127
	v_dual_mov_b32 v30, v129 :: v_dual_mov_b32 v247, v31
	s_delay_alu instid0(VALU_DEP_2) | instskip(NEXT) | instid1(VALU_DEP_1)
	v_and_b32_e32 v7, 0xffff, v6
	v_mul_u32_u24_e32 v7, 0xcccd, v7
	s_delay_alu instid0(VALU_DEP_1) | instskip(NEXT) | instid1(VALU_DEP_1)
	v_lshrrev_b32_e32 v61, 19, v7
	v_mul_lo_u16 v7, v61, 10
	s_delay_alu instid0(VALU_DEP_1) | instskip(SKIP_1) | instid1(VALU_DEP_1)
	v_sub_nc_u16 v62, v6, v7
	v_add_co_u32 v6, null, 0x2bc, v127
	v_and_b32_e32 v7, 0xffff, v6
	s_delay_alu instid0(VALU_DEP_1) | instskip(NEXT) | instid1(VALU_DEP_1)
	v_mul_u32_u24_e32 v7, 0xcccd, v7
	v_lshrrev_b32_e32 v57, 19, v7
	s_delay_alu instid0(VALU_DEP_1) | instskip(NEXT) | instid1(VALU_DEP_1)
	v_mul_lo_u16 v7, v57, 10
	v_sub_nc_u16 v58, v6, v7
	v_lshlrev_b16 v6, 1, v62
	s_delay_alu instid0(VALU_DEP_2) | instskip(NEXT) | instid1(VALU_DEP_2)
	v_lshlrev_b16 v7, 1, v58
	v_and_b32_e32 v6, 0xffff, v6
	s_delay_alu instid0(VALU_DEP_2) | instskip(NEXT) | instid1(VALU_DEP_2)
	v_and_b32_e32 v7, 0xffff, v7
	v_lshlrev_b32_e32 v6, 3, v6
	s_delay_alu instid0(VALU_DEP_2)
	v_lshlrev_b32_e32 v7, 3, v7
	s_clause 0x1
	global_load_b128 v[180:183], v6, s[10:11]
	global_load_b128 v[201:204], v7, s[10:11]
	ds_load_2addr_b64 v[36:39], v195 offset0:64 offset1:164
	s_wait_loadcnt_dscnt 0x100
	v_mul_f32_e32 v6, v37, v181
	v_mul_f32_e32 v68, v36, v181
	s_wait_loadcnt 0x0
	v_mul_f32_e32 v64, v38, v202
	s_delay_alu instid0(VALU_DEP_3) | instskip(SKIP_2) | instid1(VALU_DEP_4)
	v_fma_f32 v66, v36, v180, -v6
	v_mul_f32_e32 v6, v39, v202
	v_fmac_f32_e32 v68, v37, v180
	v_fmac_f32_e32 v64, v39, v201
	s_delay_alu instid0(VALU_DEP_3)
	v_fma_f32 v63, v38, v201, -v6
	ds_load_2addr_b64 v[36:39], v132 offset0:40 offset1:140
	s_wait_dscnt 0x0
	v_mul_f32_e32 v6, v37, v183
	v_mul_f32_e32 v69, v36, v183
	;; [unrolled: 1-line block ×3, first 2 shown]
	s_delay_alu instid0(VALU_DEP_3) | instskip(NEXT) | instid1(VALU_DEP_3)
	v_fma_f32 v7, v36, v182, -v6
	v_dual_fmac_f32 v69, v37, v182 :: v_dual_mul_f32 v6, v39, v204
	v_mov_b32_e32 v28, v127
	s_delay_alu instid0(VALU_DEP_4) | instskip(NEXT) | instid1(VALU_DEP_3)
	v_fmac_f32_e32 v67, v39, v203
	v_fma_f32 v65, v38, v203, -v6
	v_add_co_u32 v6, null, 0x320, v127
	scratch_store_b32 off, v28, off offset:224 ; 4-byte Folded Spill
	v_and_b32_e32 v10, 0xffff, v6
	s_delay_alu instid0(VALU_DEP_1) | instskip(NEXT) | instid1(VALU_DEP_1)
	v_mul_u32_u24_e32 v10, 0xcccd, v10
	v_lshrrev_b32_e32 v47, 19, v10
	s_delay_alu instid0(VALU_DEP_1) | instskip(NEXT) | instid1(VALU_DEP_1)
	v_mul_lo_u16 v10, v47, 10
	v_sub_nc_u16 v48, v6, v10
	v_add_co_u32 v10, null, 0x384, v127
	s_delay_alu instid0(VALU_DEP_1) | instskip(NEXT) | instid1(VALU_DEP_1)
	v_and_b32_e32 v6, 0xffff, v10
	v_mul_u32_u24_e32 v6, 0xcccd, v6
	s_delay_alu instid0(VALU_DEP_1) | instskip(NEXT) | instid1(VALU_DEP_1)
	v_lshrrev_b32_e32 v6, 19, v6
	v_mul_lo_u16 v11, v6, 10
	s_delay_alu instid0(VALU_DEP_1) | instskip(SKIP_1) | instid1(VALU_DEP_2)
	v_sub_nc_u16 v45, v10, v11
	v_lshlrev_b16 v10, 1, v48
	v_lshlrev_b16 v11, 1, v45
	s_delay_alu instid0(VALU_DEP_2) | instskip(SKIP_1) | instid1(VALU_DEP_3)
	v_and_b32_e32 v10, 0xffff, v10
	v_mad_u16 v6, v6, 30, v45
	v_and_b32_e32 v11, 0xffff, v11
	s_delay_alu instid0(VALU_DEP_3) | instskip(NEXT) | instid1(VALU_DEP_2)
	v_lshlrev_b32_e32 v10, 3, v10
	v_lshlrev_b32_e32 v11, 3, v11
	s_clause 0x1
	global_load_b128 v[172:175], v10, s[10:11]
	global_load_b128 v[176:179], v11, s[10:11]
	ds_load_2addr_b64 v[98:101], v199 offset0:8 offset1:108
	v_add_f32_e32 v11, v8, v9
	s_wait_loadcnt_dscnt 0x100
	v_mul_f32_e32 v10, v99, v173
	v_mul_f32_e32 v55, v98, v173
	s_wait_loadcnt 0x0
	v_mul_f32_e32 v50, v100, v177
	s_delay_alu instid0(VALU_DEP_3) | instskip(NEXT) | instid1(VALU_DEP_3)
	v_fma_f32 v51, v98, v172, -v10
	v_dual_mul_f32 v10, v101, v177 :: v_dual_fmac_f32 v55, v99, v172
	s_delay_alu instid0(VALU_DEP_3) | instskip(NEXT) | instid1(VALU_DEP_2)
	v_fmac_f32_e32 v50, v101, v176
	v_fma_f32 v49, v100, v176, -v10
	ds_load_2addr_b64 v[98:101], v211 offset0:112 offset1:212
	s_wait_dscnt 0x0
	v_mul_f32_e32 v10, v99, v175
	v_mul_f32_e32 v60, v98, v175
	;; [unrolled: 1-line block ×3, first 2 shown]
	s_delay_alu instid0(VALU_DEP_3) | instskip(SKIP_1) | instid1(VALU_DEP_4)
	v_fma_f32 v59, v98, v174, -v10
	v_mul_f32_e32 v10, v101, v179
	v_fmac_f32_e32 v60, v99, v174
	s_delay_alu instid0(VALU_DEP_4) | instskip(SKIP_1) | instid1(VALU_DEP_4)
	v_fmac_f32_e32 v56, v101, v178
	v_and_b32_e32 v4, 0xffff, v4
	v_fma_f32 v54, v100, v178, -v10
	ds_load_2addr_b64 v[98:101], v246 offset1:100
	v_mul_u32_u24_e32 v4, 30, v4
	s_delay_alu instid0(VALU_DEP_1)
	v_add_lshl_u32 v4, v4, v46, 3
	scratch_store_b32 off, v4, off offset:244 ; 4-byte Folded Spill
	ds_load_2addr_b64 v[102:105], v245 offset0:72 offset1:172
	ds_load_2addr_b64 v[106:109], v193 offset0:144 offset1:244
	;; [unrolled: 1-line block ×4, first 2 shown]
	v_sub_f32_e32 v14, v8, v9
	global_wb scope:SCOPE_SE
	s_wait_storecnt_dscnt 0x0
	s_barrier_signal -1
	s_barrier_wait -1
	global_inv scope:SCOPE_SE
	v_fmac_f32_e32 v86, v23, v223
	v_add_f32_e32 v10, v99, v8
	v_add_f32_e32 v8, v98, v16
	v_fma_f32 v11, -0.5, v11, v99
	s_delay_alu instid0(VALU_DEP_3) | instskip(SKIP_1) | instid1(VALU_DEP_3)
	v_add_f32_e32 v9, v10, v9
	v_add_f32_e32 v10, v16, v17
	v_dual_add_f32 v8, v8, v17 :: v_dual_fmamk_f32 v13, v15, 0xbf5db3d7, v11
	v_fmac_f32_e32 v11, 0x3f5db3d7, v15
	s_delay_alu instid0(VALU_DEP_3) | instskip(NEXT) | instid1(VALU_DEP_1)
	v_fma_f32 v10, -0.5, v10, v98
	v_fmamk_f32 v12, v14, 0x3f5db3d7, v10
	v_fmac_f32_e32 v10, 0xbf5db3d7, v14
	ds_store_2addr_b64 v4, v[8:9], v[12:13] offset1:10
	ds_store_b64 v4, v[10:11] offset:160
	v_add_f32_e32 v4, v85, v91
	v_add_f32_e32 v10, v88, v93
	;; [unrolled: 1-line block ×3, first 2 shown]
	v_sub_f32_e32 v12, v94, v97
	s_delay_alu instid0(VALU_DEP_4) | instskip(NEXT) | instid1(VALU_DEP_4)
	v_fma_f32 v100, -0.5, v4, v100
	v_dual_add_f32 v4, v101, v88 :: v_dual_fmac_f32 v101, -0.5, v10
	v_sub_f32_e32 v10, v85, v91
	v_add_f32_e32 v8, v8, v91
	s_delay_alu instid0(VALU_DEP_2) | instskip(SKIP_3) | instid1(VALU_DEP_2)
	v_dual_add_f32 v9, v4, v93 :: v_dual_fmamk_f32 v4, v10, 0xbf5db3d7, v101
	v_fmac_f32_e32 v101, 0x3f5db3d7, v10
	v_mad_u16 v10, v80, 30, v81
	v_lshrrev_b16 v80, 12, v1
	v_and_b32_e32 v13, 0xffff, v10
	v_sub_f32_e32 v11, v88, v93
	s_delay_alu instid0(VALU_DEP_3) | instskip(NEXT) | instid1(VALU_DEP_3)
	v_mul_lo_u16 v1, v80, 30
	v_lshlrev_b32_e32 v13, 3, v13
	s_delay_alu instid0(VALU_DEP_3)
	v_fmamk_f32 v3, v11, 0x3f5db3d7, v100
	v_fmac_f32_e32 v100, 0xbf5db3d7, v11
	scratch_store_b32 off, v5, off offset:248 ; 4-byte Folded Spill
	v_sub_nc_u16 v0, v0, v1
	scratch_store_b32 off, v13, off offset:256 ; 4-byte Folded Spill
	ds_store_2addr_b64 v5, v[8:9], v[3:4] offset1:10
	ds_store_b64 v5, v[100:101] offset:160
	v_add_f32_e32 v3, v103, v94
	v_add_f32_e32 v5, v94, v97
	;; [unrolled: 1-line block ×3, first 2 shown]
	s_delay_alu instid0(VALU_DEP_3) | instskip(SKIP_1) | instid1(VALU_DEP_3)
	v_dual_add_f32 v4, v3, v97 :: v_dual_and_b32 v81, 0xff, v0
	v_add_f32_e32 v3, v102, v90
	v_fma_f32 v8, -0.5, v8, v102
	v_fma_f32 v9, -0.5, v5, v103
	v_sub_f32_e32 v5, v90, v96
	s_delay_alu instid0(VALU_DEP_3) | instskip(NEXT) | instid1(VALU_DEP_2)
	v_dual_add_f32 v3, v3, v96 :: v_dual_fmamk_f32 v10, v12, 0x3f5db3d7, v8
	v_dual_fmac_f32 v8, 0xbf5db3d7, v12 :: v_dual_fmamk_f32 v11, v5, 0xbf5db3d7, v9
	v_fmac_f32_e32 v9, 0x3f5db3d7, v5
	v_dual_add_f32 v5, v104, v76 :: v_dual_sub_f32 v12, v89, v95
	ds_store_2addr_b64 v13, v[3:4], v[10:11] offset1:10
	v_add_f32_e32 v3, v76, v82
	ds_store_b64 v13, v[8:9] offset:160
	v_mad_u16 v8, v70, 30, v71
	v_mul_lo_u16 v2, 0x89, v2
	v_fma_f32 v104, -0.5, v3, v104
	v_add_f32_e32 v3, v105, v78
	s_delay_alu instid0(VALU_DEP_1)
	v_dual_add_f32 v4, v3, v86 :: v_dual_and_b32 v11, 0xffff, v8
	v_add_f32_e32 v3, v5, v82
	v_add_f32_e32 v9, v78, v86
	v_sub_f32_e32 v10, v78, v86
	v_sub_f32_e32 v5, v76, v82
	v_lshlrev_b32_e32 v11, 3, v11
	s_delay_alu instid0(VALU_DEP_3) | instskip(SKIP_2) | instid1(VALU_DEP_3)
	v_dual_fmac_f32 v105, -0.5, v9 :: v_dual_fmamk_f32 v8, v10, 0x3f5db3d7, v104
	v_fmac_f32_e32 v104, 0xbf5db3d7, v10
	v_mad_u16 v10, v74, 30, v75
	v_fmamk_f32 v9, v5, 0xbf5db3d7, v105
	v_fmac_f32_e32 v105, 0x3f5db3d7, v5
	v_add_f32_e32 v5, v89, v95
	s_delay_alu instid0(VALU_DEP_4)
	v_and_b32_e32 v13, 0xffff, v10
	ds_store_2addr_b64 v11, v[3:4], v[8:9] offset1:10
	v_dual_add_f32 v3, v107, v89 :: v_dual_add_f32 v8, v84, v92
	v_fma_f32 v9, -0.5, v5, v107
	v_sub_f32_e32 v5, v84, v92
	ds_store_b64 v11, v[104:105] offset:160
	v_dual_add_f32 v4, v3, v95 :: v_dual_add_f32 v3, v106, v84
	v_fma_f32 v8, -0.5, v8, v106
	v_lshlrev_b32_e32 v13, 3, v13
	scratch_store_b32 off, v11, off offset:232 ; 4-byte Folded Spill
	v_fmamk_f32 v11, v5, 0xbf5db3d7, v9
	v_dual_add_f32 v3, v3, v92 :: v_dual_fmamk_f32 v10, v12, 0x3f5db3d7, v8
	v_fmac_f32_e32 v8, 0xbf5db3d7, v12
	v_fmac_f32_e32 v9, 0x3f5db3d7, v5
	v_add_f32_e32 v5, v108, v77
	v_lshrrev_b16 v107, 12, v2
	ds_store_2addr_b64 v13, v[3:4], v[10:11] offset1:10
	v_add_f32_e32 v3, v77, v83
	ds_store_b64 v13, v[8:9] offset:160
	v_mad_u16 v8, v72, 30, v73
	v_add_f32_e32 v9, v79, v87
	v_sub_f32_e32 v10, v79, v87
	v_fma_f32 v108, -0.5, v3, v108
	v_add_f32_e32 v3, v109, v79
	v_and_b32_e32 v11, 0xffff, v8
	v_fmac_f32_e32 v109, -0.5, v9
	v_sub_f32_e32 v12, v68, v69
	v_fmamk_f32 v8, v10, 0x3f5db3d7, v108
	v_add_f32_e32 v4, v3, v87
	v_add_f32_e32 v3, v5, v83
	v_sub_f32_e32 v5, v77, v83
	v_dual_mov_b32 v18, v132 :: v_dual_lshlrev_b32 v11, 3, v11
	v_fmac_f32_e32 v108, 0xbf5db3d7, v10
	v_mad_u16 v10, v61, 30, v62
	s_delay_alu instid0(VALU_DEP_4)
	v_fmamk_f32 v9, v5, 0xbf5db3d7, v109
	v_fmac_f32_e32 v109, 0x3f5db3d7, v5
	v_add_f32_e32 v5, v68, v69
	v_mul_lo_u16 v2, v107, 30
	scratch_store_b32 off, v13, off offset:228 ; 4-byte Folded Spill
	ds_store_2addr_b64 v11, v[3:4], v[8:9] offset1:10
	v_dual_add_f32 v3, v111, v68 :: v_dual_add_f32 v8, v66, v7
	v_fma_f32 v9, -0.5, v5, v111
	v_sub_f32_e32 v5, v66, v7
	ds_store_b64 v11, v[108:109] offset:160
	v_dual_add_f32 v4, v3, v69 :: v_dual_add_f32 v3, v110, v66
	v_fma_f32 v8, -0.5, v8, v110
	v_sub_nc_u16 v2, v44, v2
	s_delay_alu instid0(VALU_DEP_3) | instskip(SKIP_1) | instid1(VALU_DEP_4)
	v_add_f32_e32 v3, v3, v7
	v_and_b32_e32 v7, 0xffff, v10
	v_fmamk_f32 v10, v12, 0x3f5db3d7, v8
	v_fmac_f32_e32 v8, 0xbf5db3d7, v12
	v_and_b32_e32 v108, 0xff, v2
	s_delay_alu instid0(VALU_DEP_4)
	v_lshlrev_b32_e32 v7, 3, v7
	scratch_store_b32 off, v11, off offset:252 ; 4-byte Folded Spill
	v_fmamk_f32 v11, v5, 0xbf5db3d7, v9
	v_fmac_f32_e32 v9, 0x3f5db3d7, v5
	v_add_f32_e32 v5, v112, v63
	scratch_store_b32 off, v7, off offset:260 ; 4-byte Folded Spill
	ds_store_2addr_b64 v7, v[3:4], v[10:11] offset1:10
	v_add_f32_e32 v3, v63, v65
	ds_store_b64 v7, v[8:9] offset:160
	v_mad_u16 v7, v57, 30, v58
	v_add_f32_e32 v8, v64, v67
	v_sub_f32_e32 v9, v64, v67
	v_fma_f32 v112, -0.5, v3, v112
	s_delay_alu instid0(VALU_DEP_4) | instskip(NEXT) | instid1(VALU_DEP_4)
	v_dual_add_f32 v3, v113, v64 :: v_dual_and_b32 v10, 0xffff, v7
	v_fmac_f32_e32 v113, -0.5, v8
	v_sub_f32_e32 v11, v55, v60
	s_delay_alu instid0(VALU_DEP_3) | instskip(SKIP_4) | instid1(VALU_DEP_3)
	v_dual_fmamk_f32 v7, v9, 0x3f5db3d7, v112 :: v_dual_add_f32 v4, v3, v67
	v_add_f32_e32 v3, v5, v65
	v_dual_sub_f32 v5, v63, v65 :: v_dual_lshlrev_b32 v10, 3, v10
	v_fmac_f32_e32 v112, 0xbf5db3d7, v9
	v_mad_u16 v9, v47, 30, v48
	v_fmamk_f32 v8, v5, 0xbf5db3d7, v113
	v_fmac_f32_e32 v113, 0x3f5db3d7, v5
	s_delay_alu instid0(VALU_DEP_3)
	v_dual_add_f32 v5, v55, v60 :: v_dual_and_b32 v12, 0xffff, v9
	scratch_store_b32 off, v10, off offset:268 ; 4-byte Folded Spill
	ds_store_2addr_b64 v10, v[3:4], v[7:8] offset1:10
	v_add_f32_e32 v3, v115, v55
	v_add_f32_e32 v7, v51, v59
	v_fma_f32 v8, -0.5, v5, v115
	v_sub_f32_e32 v5, v51, v59
	ds_store_b64 v10, v[112:113] offset:160
	v_dual_add_f32 v4, v3, v60 :: v_dual_add_f32 v3, v114, v51
	v_fma_f32 v7, -0.5, v7, v114
	v_fmamk_f32 v10, v5, 0xbf5db3d7, v8
	v_lshlrev_b32_e32 v12, 3, v12
	s_delay_alu instid0(VALU_DEP_4) | instskip(NEXT) | instid1(VALU_DEP_4)
	v_dual_fmac_f32 v8, 0x3f5db3d7, v5 :: v_dual_add_f32 v3, v3, v59
	v_fmamk_f32 v9, v11, 0x3f5db3d7, v7
	v_fmac_f32_e32 v7, 0xbf5db3d7, v11
	v_add_f32_e32 v5, v116, v49
	ds_store_2addr_b64 v12, v[3:4], v[9:10] offset1:10
	ds_store_b64 v12, v[7:8] offset:160
	v_add_f32_e32 v3, v49, v54
	v_add_f32_e32 v7, v50, v56
	v_dual_sub_f32 v8, v50, v56 :: v_dual_and_b32 v9, 0xffff, v6
	s_delay_alu instid0(VALU_DEP_3) | instskip(SKIP_1) | instid1(VALU_DEP_4)
	v_fma_f32 v116, -0.5, v3, v116
	v_add_f32_e32 v3, v117, v50
	v_fmac_f32_e32 v117, -0.5, v7
	v_sub_f32_e32 v7, v49, v54
	v_lshlrev_b32_e32 v9, 3, v9
	scratch_store_b32 off, v12, off offset:272 ; 4-byte Folded Spill
	v_dual_add_f32 v4, v3, v56 :: v_dual_add_f32 v3, v5, v54
	v_fmamk_f32 v5, v8, 0x3f5db3d7, v116
	v_fmamk_f32 v6, v7, 0xbf5db3d7, v117
	v_fmac_f32_e32 v116, 0xbf5db3d7, v8
	v_fmac_f32_e32 v117, 0x3f5db3d7, v7
	scratch_store_b32 off, v9, off offset:264 ; 4-byte Folded Spill
	ds_store_2addr_b64 v9, v[3:4], v[5:6] offset1:10
	v_mad_co_u64_u32 v[4:5], null, 0x48, v108, s[10:11]
	ds_store_b64 v9, v[116:117] offset:160
	global_wb scope:SCOPE_SE
	s_wait_storecnt_dscnt 0x0
	s_barrier_signal -1
	s_barrier_wait -1
	global_inv scope:SCOPE_SE
	ds_load_2addr_b64 v[0:3], v129 offset0:88 offset1:188
	s_clause 0x1
	global_load_b128 v[251:254], v[4:5], off offset:160
	global_load_b128 v[44:47], v[4:5], off offset:176
	s_wait_loadcnt_dscnt 0x100
	v_mul_f32_e32 v6, v1, v254
	v_mul_f32_e32 v122, v0, v254
	s_delay_alu instid0(VALU_DEP_2)
	v_fma_f32 v126, v0, v253, -v6
	v_mad_co_u64_u32 v[6:7], null, 0x48, v81, s[10:11]
	s_clause 0x1
	global_load_b64 v[209:210], v[4:5], off offset:224
	global_load_b128 v[48:51], v[6:7], off offset:160
	v_fmac_f32_e32 v122, v1, v253
	s_wait_loadcnt 0x0
	v_mul_f32_e32 v0, v3, v51
	v_mul_f32_e32 v118, v2, v51
	s_delay_alu instid0(VALU_DEP_2) | instskip(NEXT) | instid1(VALU_DEP_2)
	v_fma_f32 v116, v2, v50, -v0
	v_fmac_f32_e32 v118, v3, v50
	ds_load_2addr_b64 v[0:3], v130 offset0:48 offset1:148
	s_clause 0x3
	global_load_b128 v[56:59], v[6:7], off offset:176
	global_load_b128 v[64:67], v[6:7], off offset:192
	;; [unrolled: 1-line block ×4, first 2 shown]
	s_wait_dscnt 0x0
	v_mul_f32_e32 v8, v1, v47
	v_mul_f32_e32 v136, v0, v47
	s_delay_alu instid0(VALU_DEP_2) | instskip(NEXT) | instid1(VALU_DEP_2)
	v_fma_f32 v137, v0, v46, -v8
	v_fmac_f32_e32 v136, v1, v46
	s_wait_loadcnt 0x3
	v_mul_f32_e32 v0, v3, v59
	v_mul_f32_e32 v120, v2, v59
	s_delay_alu instid0(VALU_DEP_2) | instskip(NEXT) | instid1(VALU_DEP_2)
	v_fma_f32 v117, v2, v58, -v0
	v_fmac_f32_e32 v120, v3, v58
	ds_load_2addr_b64 v[0:3], v199 offset0:8 offset1:108
	s_wait_loadcnt_dscnt 0x100
	v_mul_f32_e32 v138, v0, v63
	s_delay_alu instid0(VALU_DEP_1) | instskip(NEXT) | instid1(VALU_DEP_1)
	v_dual_mul_f32 v121, v2, v67 :: v_dual_fmac_f32 v138, v1, v62
	v_dual_mul_f32 v4, v1, v63 :: v_dual_fmac_f32 v121, v3, v66
	s_delay_alu instid0(VALU_DEP_2) | instskip(NEXT) | instid1(VALU_DEP_2)
	v_add_f32_e32 v23, v136, v138
	v_fma_f32 v139, v0, v62, -v4
	v_mul_f32_e32 v0, v3, v67
	s_delay_alu instid0(VALU_DEP_1)
	v_fma_f32 v119, v2, v66, -v0
	ds_load_2addr_b64 v[0:3], v131 offset0:96 offset1:196
	s_clause 0x1
	global_load_b64 v[197:198], v[6:7], off offset:224
	global_load_b128 v[84:87], v[6:7], off offset:208
	s_wait_loadcnt_dscnt 0x200
	v_mul_f32_e32 v4, v1, v75
	s_delay_alu instid0(VALU_DEP_1) | instskip(SKIP_1) | instid1(VALU_DEP_1)
	v_fma_f32 v141, v0, v74, -v4
	v_mul_f32_e32 v140, v0, v75
	v_fmac_f32_e32 v140, v1, v74
	s_wait_loadcnt 0x0
	v_mul_f32_e32 v0, v3, v87
	v_mul_f32_e32 v127, v2, v87
	s_delay_alu instid0(VALU_DEP_2) | instskip(SKIP_1) | instid1(VALU_DEP_3)
	v_fma_f32 v123, v2, v86, -v0
	v_mul_u32_u24_e32 v0, 0x8889, v53
	v_fmac_f32_e32 v127, v3, v86
	s_delay_alu instid0(VALU_DEP_2) | instskip(NEXT) | instid1(VALU_DEP_1)
	v_lshrrev_b32_e32 v102, 20, v0
	v_mul_lo_u16 v0, v102, 30
	s_delay_alu instid0(VALU_DEP_1) | instskip(NEXT) | instid1(VALU_DEP_1)
	v_sub_nc_u16 v103, v52, v0
	v_mul_lo_u16 v0, 0x48, v103
	s_delay_alu instid0(VALU_DEP_1) | instskip(NEXT) | instid1(VALU_DEP_1)
	v_and_b32_e32 v0, 0xffff, v0
	v_add_co_u32 v4, s2, s10, v0
	s_wait_alu 0xf1ff
	v_add_co_ci_u32_e64 v5, null, s11, 0, s2
	ds_load_2addr_b64 v[0:3], v193 offset0:144 offset1:244
	s_clause 0x1
	global_load_b128 v[68:71], v[4:5], off offset:160
	global_load_b128 v[76:79], v[4:5], off offset:176
	s_add_nc_u64 s[2:3], s[8:9], 0x5dc0
	s_wait_dscnt 0x0
	v_mul_f32_e32 v6, v1, v49
	v_mul_f32_e32 v125, v0, v49
	s_delay_alu instid0(VALU_DEP_2) | instskip(SKIP_1) | instid1(VALU_DEP_2)
	v_fma_f32 v124, v0, v48, -v6
	s_wait_loadcnt 0x1
	v_dual_fmac_f32 v125, v1, v48 :: v_dual_mul_f32 v0, v3, v69
	v_mul_f32_e32 v83, v2, v69
	s_delay_alu instid0(VALU_DEP_2) | instskip(NEXT) | instid1(VALU_DEP_2)
	v_fma_f32 v82, v2, v68, -v0
	v_fmac_f32_e32 v83, v3, v68
	ds_load_2addr_b64 v[0:3], v133 offset0:32 offset1:132
	s_wait_dscnt 0x0
	v_mul_f32_e32 v6, v3, v45
	v_dual_mul_f32 v142, v2, v45 :: v_dual_mul_f32 v97, v0, v71
	s_delay_alu instid0(VALU_DEP_2) | instskip(SKIP_1) | instid1(VALU_DEP_3)
	v_fma_f32 v143, v2, v44, -v6
	v_mul_f32_e32 v2, v1, v71
	v_dual_fmac_f32 v142, v3, v44 :: v_dual_fmac_f32 v97, v1, v70
	s_delay_alu instid0(VALU_DEP_2)
	v_fma_f32 v96, v0, v70, -v2
	ds_load_2addr_b64 v[0:3], v191 offset0:104 offset1:204
	s_wait_dscnt 0x0
	v_mul_f32_e32 v6, v1, v57
	v_mul_f32_e32 v128, v0, v57
	s_wait_loadcnt 0x0
	v_mul_f32_e32 v98, v2, v77
	s_delay_alu instid0(VALU_DEP_3) | instskip(SKIP_2) | instid1(VALU_DEP_4)
	v_fma_f32 v129, v0, v56, -v6
	v_mul_f32_e32 v0, v3, v77
	v_fmac_f32_e32 v128, v1, v56
	v_fmac_f32_e32 v98, v3, v76
	s_delay_alu instid0(VALU_DEP_3) | instskip(SKIP_4) | instid1(VALU_DEP_2)
	v_fma_f32 v100, v2, v76, -v0
	ds_load_2addr_b64 v[0:3], v189 offset0:120 offset1:220
	s_wait_dscnt 0x0
	v_mul_f32_e32 v6, v3, v61
	v_dual_mul_f32 v144, v2, v61 :: v_dual_mul_f32 v101, v0, v79
	v_fma_f32 v145, v2, v60, -v6
	v_mul_f32_e32 v2, v1, v79
	s_delay_alu instid0(VALU_DEP_3) | instskip(NEXT) | instid1(VALU_DEP_2)
	v_dual_fmac_f32 v144, v3, v60 :: v_dual_fmac_f32 v101, v1, v78
	v_fma_f32 v99, v0, v78, -v2
	ds_load_2addr_b64 v[0:3], v195 offset0:64 offset1:164
	s_clause 0x2
	global_load_b128 v[88:91], v[4:5], off offset:192
	global_load_b128 v[92:95], v[4:5], off offset:208
	global_load_b64 v[237:238], v[4:5], off offset:224
	ds_load_2addr_b64 v[52:55], v245 offset0:72 offset1:172
	s_wait_dscnt 0x1
	v_mul_f32_e32 v6, v1, v65
	s_wait_dscnt 0x0
	v_dual_mul_f32 v130, v0, v65 :: v_dual_mul_f32 v13, v54, v252
	s_delay_alu instid0(VALU_DEP_2) | instskip(NEXT) | instid1(VALU_DEP_2)
	v_fma_f32 v131, v0, v64, -v6
	v_dual_fmac_f32 v130, v1, v64 :: v_dual_fmac_f32 v13, v55, v251
	s_delay_alu instid0(VALU_DEP_1) | instskip(NEXT) | instid1(VALU_DEP_1)
	v_add_f32_e32 v7, v13, v142
	v_add_f32_e32 v7, v7, v144
	s_wait_loadcnt 0x2
	v_mul_f32_e32 v0, v3, v89
	v_mul_f32_e32 v105, v2, v89
	s_delay_alu instid0(VALU_DEP_2) | instskip(NEXT) | instid1(VALU_DEP_2)
	v_fma_f32 v106, v2, v88, -v0
	v_fmac_f32_e32 v105, v3, v88
	ds_load_2addr_b64 v[0:3], v135 offset0:80 offset1:180
	s_wait_dscnt 0x0
	v_mul_f32_e32 v6, v3, v73
	v_dual_mul_f32 v146, v2, v73 :: v_dual_mul_f32 v109, v0, v91
	s_delay_alu instid0(VALU_DEP_2) | instskip(SKIP_1) | instid1(VALU_DEP_3)
	v_fma_f32 v147, v2, v72, -v6
	v_mul_f32_e32 v2, v1, v91
	v_dual_fmac_f32 v146, v3, v72 :: v_dual_fmac_f32 v109, v1, v90
	s_delay_alu instid0(VALU_DEP_3) | instskip(NEXT) | instid1(VALU_DEP_3)
	v_sub_f32_e32 v17, v145, v147
	v_fma_f32 v104, v0, v90, -v2
	ds_load_2addr_b64 v[0:3], v250 offset0:152 offset1:252
	v_sub_f32_e32 v19, v144, v146
	s_wait_dscnt 0x0
	v_dual_add_f32 v7, v7, v146 :: v_dual_mul_f32 v6, v1, v85
	v_mul_f32_e32 v132, v0, v85
	s_wait_loadcnt 0x1
	v_mul_f32_e32 v110, v2, v93
	s_delay_alu instid0(VALU_DEP_3) | instskip(SKIP_2) | instid1(VALU_DEP_4)
	v_fma_f32 v133, v0, v84, -v6
	v_mul_f32_e32 v0, v3, v93
	v_fmac_f32_e32 v132, v1, v84
	v_fmac_f32_e32 v110, v3, v92
	s_delay_alu instid0(VALU_DEP_3) | instskip(SKIP_4) | instid1(VALU_DEP_2)
	v_fma_f32 v112, v2, v92, -v0
	ds_load_2addr_b64 v[0:3], v18 offset0:40 offset1:140
	s_wait_dscnt 0x0
	v_mul_f32_e32 v6, v3, v210
	v_dual_mul_f32 v148, v2, v210 :: v_dual_mul_f32 v113, v0, v95
	v_fma_f32 v149, v2, v209, -v6
	v_mul_f32_e32 v2, v1, v95
	s_delay_alu instid0(VALU_DEP_3) | instskip(NEXT) | instid1(VALU_DEP_3)
	v_dual_fmac_f32 v148, v3, v209 :: v_dual_fmac_f32 v113, v1, v94
	v_sub_f32_e32 v16, v143, v149
	s_delay_alu instid0(VALU_DEP_3)
	v_fma_f32 v111, v0, v94, -v2
	ds_load_2addr_b64 v[0:3], v211 offset0:112 offset1:212
	s_wait_dscnt 0x0
	v_dual_add_f32 v151, v7, v148 :: v_dual_mul_f32 v4, v1, v198
	v_mul_f32_e32 v134, v0, v198
	s_wait_loadcnt 0x0
	v_mul_f32_e32 v114, v2, v238
	s_delay_alu instid0(VALU_DEP_3) | instskip(SKIP_2) | instid1(VALU_DEP_4)
	v_fma_f32 v135, v0, v197, -v4
	v_mul_f32_e32 v0, v3, v238
	v_fmac_f32_e32 v134, v1, v197
	v_dual_sub_f32 v1, v141, v139 :: v_dual_fmac_f32 v114, v3, v237
	v_add_f32_e32 v4, v137, v139
	s_delay_alu instid0(VALU_DEP_4) | instskip(SKIP_1) | instid1(VALU_DEP_1)
	v_fma_f32 v115, v2, v237, -v0
	v_sub_f32_e32 v0, v126, v137
	v_add_f32_e32 v8, v0, v1
	v_dual_sub_f32 v0, v122, v136 :: v_dual_sub_f32 v1, v140, v138
	s_delay_alu instid0(VALU_DEP_1) | instskip(SKIP_3) | instid1(VALU_DEP_3)
	v_add_f32_e32 v9, v0, v1
	v_dual_sub_f32 v0, v143, v145 :: v_dual_sub_f32 v1, v149, v147
	v_mov_b32_e32 v32, v18
	v_sub_f32_e32 v18, v142, v148
	v_add_f32_e32 v10, v0, v1
	v_dual_sub_f32 v0, v142, v144 :: v_dual_sub_f32 v1, v148, v146
	s_delay_alu instid0(VALU_DEP_1) | instskip(NEXT) | instid1(VALU_DEP_1)
	v_dual_add_f32 v11, v0, v1 :: v_dual_mul_f32 v0, v55, v252
	v_fma_f32 v12, v54, v251, -v0
	v_add_f32_e32 v0, v145, v147
	v_sub_f32_e32 v54, v126, v141
	s_delay_alu instid0(VALU_DEP_3) | instskip(NEXT) | instid1(VALU_DEP_3)
	v_add_f32_e32 v6, v12, v143
	v_fma_f32 v14, -0.5, v0, v12
	v_add_f32_e32 v0, v144, v146
	s_delay_alu instid0(VALU_DEP_3) | instskip(NEXT) | instid1(VALU_DEP_3)
	v_add_f32_e32 v6, v6, v145
	v_fmamk_f32 v1, v18, 0x3f737871, v14
	s_delay_alu instid0(VALU_DEP_3) | instskip(SKIP_1) | instid1(VALU_DEP_3)
	v_fma_f32 v15, -0.5, v0, v13
	v_fmac_f32_e32 v14, 0xbf737871, v18
	v_fmac_f32_e32 v1, 0x3f167918, v19
	s_delay_alu instid0(VALU_DEP_3) | instskip(SKIP_1) | instid1(VALU_DEP_4)
	v_fmamk_f32 v0, v16, 0xbf737871, v15
	v_fmac_f32_e32 v15, 0x3f737871, v16
	v_fmac_f32_e32 v14, 0xbf167918, v19
	s_delay_alu instid0(VALU_DEP_4) | instskip(NEXT) | instid1(VALU_DEP_4)
	v_fmac_f32_e32 v1, 0x3e9e377a, v10
	v_fmac_f32_e32 v0, 0xbf167918, v17
	s_delay_alu instid0(VALU_DEP_4) | instskip(NEXT) | instid1(VALU_DEP_4)
	;; [unrolled: 3-line block ×3, first 2 shown]
	v_mul_f32_e32 v21, 0xbf167918, v1
	v_fmac_f32_e32 v0, 0x3e9e377a, v11
	s_delay_alu instid0(VALU_DEP_4) | instskip(NEXT) | instid1(VALU_DEP_2)
	v_fmac_f32_e32 v15, 0x3e9e377a, v11
	v_mul_f32_e32 v20, 0x3f167918, v0
	s_delay_alu instid0(VALU_DEP_4) | instskip(SKIP_1) | instid1(VALU_DEP_3)
	v_fmac_f32_e32 v21, 0x3f4f1bbd, v0
	v_and_b32_e32 v0, 0xffff, v107
	v_dual_sub_f32 v107, v137, v139 :: v_dual_fmac_f32 v20, 0x3f4f1bbd, v1
	s_delay_alu instid0(VALU_DEP_2) | instskip(NEXT) | instid1(VALU_DEP_1)
	v_mul_u32_u24_e32 v0, 0x12c, v0
	v_add_lshl_u32 v38, v0, v108, 3
	ds_load_2addr_b64 v[0:3], v246 offset1:100
	v_add_f32_e32 v6, v6, v147
	global_wb scope:SCOPE_SE
	s_wait_dscnt 0x0
	s_barrier_signal -1
	s_barrier_wait -1
	global_inv scope:SCOPE_SE
	v_dual_add_f32 v150, v6, v149 :: v_dual_add_f32 v5, v1, v122
	v_fma_f32 v23, -0.5, v23, v1
	v_fma_f32 v22, -0.5, v4, v0
	s_delay_alu instid0(VALU_DEP_2) | instskip(NEXT) | instid1(VALU_DEP_1)
	v_dual_add_f32 v4, v0, v126 :: v_dual_fmamk_f32 v55, v54, 0xbf737871, v23
	v_dual_add_f32 v5, v5, v136 :: v_dual_add_f32 v4, v4, v137
	v_fmac_f32_e32 v23, 0x3f737871, v54
	s_delay_alu instid0(VALU_DEP_3) | instskip(NEXT) | instid1(VALU_DEP_3)
	v_fmac_f32_e32 v55, 0xbf167918, v107
	v_add_f32_e32 v5, v5, v138
	v_sub_f32_e32 v27, v136, v138
	v_add_f32_e32 v4, v4, v139
	v_fmac_f32_e32 v23, 0x3f167918, v107
	s_delay_alu instid0(VALU_DEP_4) | instskip(NEXT) | instid1(VALU_DEP_3)
	v_dual_fmac_f32 v55, 0x3e9e377a, v9 :: v_dual_add_f32 v108, v5, v140
	v_add_f32_e32 v24, v4, v141
	s_delay_alu instid0(VALU_DEP_3) | instskip(NEXT) | instid1(VALU_DEP_3)
	v_fmac_f32_e32 v23, 0x3e9e377a, v9
	v_add_f32_e32 v7, v55, v21
	s_delay_alu instid0(VALU_DEP_4) | instskip(NEXT) | instid1(VALU_DEP_4)
	v_add_f32_e32 v5, v108, v151
	v_dual_sub_f32 v25, v122, v140 :: v_dual_add_f32 v4, v24, v150
	v_mul_f32_e32 v9, 0xbf4f1bbd, v15
	s_delay_alu instid0(VALU_DEP_2) | instskip(SKIP_1) | instid1(VALU_DEP_3)
	v_fmamk_f32 v26, v25, 0x3f737871, v22
	v_fmac_f32_e32 v22, 0xbf737871, v25
	v_fmac_f32_e32 v9, 0xbf167918, v14
	s_delay_alu instid0(VALU_DEP_3) | instskip(NEXT) | instid1(VALU_DEP_3)
	v_fmac_f32_e32 v26, 0x3f167918, v27
	v_fmac_f32_e32 v22, 0xbf167918, v27
	s_delay_alu instid0(VALU_DEP_2) | instskip(NEXT) | instid1(VALU_DEP_2)
	v_fmac_f32_e32 v26, 0x3e9e377a, v8
	v_fmac_f32_e32 v22, 0x3e9e377a, v8
	v_mul_f32_e32 v8, 0xbf4f1bbd, v14
	s_delay_alu instid0(VALU_DEP_3) | instskip(NEXT) | instid1(VALU_DEP_2)
	v_add_f32_e32 v6, v26, v20
	v_fmac_f32_e32 v8, 0x3f167918, v15
	ds_store_2addr_b64 v38, v[4:5], v[6:7] offset1:30
	v_dual_sub_f32 v4, v137, v126 :: v_dual_sub_f32 v5, v139, v141
	v_add_f32_e32 v6, v126, v141
	v_dual_add_f32 v7, v122, v140 :: v_dual_sub_f32 v126, v145, v143
	v_sub_f32_e32 v137, v147, v149
	s_delay_alu instid0(VALU_DEP_4)
	v_add_f32_e32 v4, v4, v5
	v_dual_sub_f32 v5, v136, v122 :: v_dual_add_f32 v136, v143, v149
	v_sub_f32_e32 v122, v138, v140
	v_fma_f32 v7, -0.5, v7, v1
	v_sub_f32_e32 v140, v146, v148
	v_fma_f32 v6, -0.5, v6, v0
	s_delay_alu instid0(VALU_DEP_4) | instskip(NEXT) | instid1(VALU_DEP_1)
	v_dual_fmac_f32 v12, -0.5, v136 :: v_dual_add_f32 v5, v5, v122
	v_dual_add_f32 v122, v126, v137 :: v_dual_fmamk_f32 v137, v19, 0xbf737871, v12
	v_fmac_f32_e32 v12, 0x3f737871, v19
	v_add_f32_e32 v19, v117, v119
	s_delay_alu instid0(VALU_DEP_3) | instskip(NEXT) | instid1(VALU_DEP_3)
	v_fmac_f32_e32 v137, 0x3f167918, v18
	v_dual_add_f32 v139, v142, v148 :: v_dual_fmac_f32 v12, 0xbf167918, v18
	s_delay_alu instid0(VALU_DEP_3) | instskip(NEXT) | instid1(VALU_DEP_3)
	v_fma_f32 v19, -0.5, v19, v2
	v_fmac_f32_e32 v137, 0x3e9e377a, v122
	s_delay_alu instid0(VALU_DEP_3) | instskip(SKIP_3) | instid1(VALU_DEP_4)
	v_fmac_f32_e32 v13, -0.5, v139
	v_fmamk_f32 v139, v107, 0x3f737871, v7
	v_fmac_f32_e32 v12, 0x3e9e377a, v122
	v_fmac_f32_e32 v7, 0xbf737871, v107
	v_fmamk_f32 v136, v17, 0x3f737871, v13
	s_delay_alu instid0(VALU_DEP_4)
	v_fmac_f32_e32 v139, 0xbf167918, v54
	v_fmac_f32_e32 v13, 0xbf737871, v17
	v_mul_f32_e32 v122, 0xbe9e377a, v12
	v_fmac_f32_e32 v7, 0x3f167918, v54
	v_fmac_f32_e32 v136, 0xbf167918, v16
	v_dual_fmac_f32 v139, 0x3e9e377a, v5 :: v_dual_sub_f32 v138, v144, v142
	v_fmac_f32_e32 v13, 0x3f167918, v16
	s_delay_alu instid0(VALU_DEP_2) | instskip(NEXT) | instid1(VALU_DEP_1)
	v_dual_fmac_f32 v7, 0x3e9e377a, v5 :: v_dual_add_f32 v126, v138, v140
	v_fmac_f32_e32 v136, 0x3e9e377a, v126
	s_delay_alu instid0(VALU_DEP_3) | instskip(NEXT) | instid1(VALU_DEP_2)
	v_fmac_f32_e32 v13, 0x3e9e377a, v126
	v_mul_f32_e32 v138, 0x3f737871, v136
	s_delay_alu instid0(VALU_DEP_2) | instskip(SKIP_1) | instid1(VALU_DEP_3)
	v_fmac_f32_e32 v122, 0x3f737871, v13
	v_mul_f32_e32 v13, 0xbe9e377a, v13
	v_fmac_f32_e32 v138, 0x3e9e377a, v137
	v_mul_f32_e32 v137, 0xbf737871, v137
	s_delay_alu instid0(VALU_DEP_3) | instskip(NEXT) | instid1(VALU_DEP_2)
	v_dual_fmac_f32 v13, 0xbf737871, v12 :: v_dual_sub_f32 v12, v129, v135
	v_fmac_f32_e32 v137, 0x3e9e377a, v136
	v_fmamk_f32 v136, v27, 0xbf737871, v6
	s_delay_alu instid0(VALU_DEP_3) | instskip(SKIP_1) | instid1(VALU_DEP_4)
	v_dual_fmac_f32 v6, 0x3f737871, v27 :: v_dual_add_f32 v5, v7, v13
	v_sub_f32_e32 v15, v130, v132
	v_add_f32_e32 v1, v139, v137
	s_delay_alu instid0(VALU_DEP_4) | instskip(NEXT) | instid1(VALU_DEP_4)
	v_fmac_f32_e32 v136, 0x3f167918, v25
	v_dual_fmac_f32 v6, 0xbf167918, v25 :: v_dual_sub_f32 v25, v117, v119
	s_delay_alu instid0(VALU_DEP_2) | instskip(NEXT) | instid1(VALU_DEP_2)
	v_fmac_f32_e32 v136, 0x3e9e377a, v4
	v_fmac_f32_e32 v6, 0x3e9e377a, v4
	s_delay_alu instid0(VALU_DEP_2) | instskip(NEXT) | instid1(VALU_DEP_2)
	v_add_f32_e32 v0, v136, v138
	v_add_f32_e32 v4, v6, v122
	ds_store_2addr_b64 v38, v[0:1], v[4:5] offset0:60 offset1:90
	v_sub_f32_e32 v0, v24, v150
	v_dual_sub_f32 v1, v108, v151 :: v_dual_add_f32 v4, v22, v8
	v_dual_add_f32 v5, v23, v9 :: v_dual_sub_f32 v24, v116, v123
	ds_store_2addr_b64 v38, v[4:5], v[0:1] offset0:120 offset1:150
	v_dual_sub_f32 v0, v26, v20 :: v_dual_sub_f32 v1, v55, v21
	v_dual_sub_f32 v4, v136, v138 :: v_dual_sub_f32 v5, v139, v137
	v_sub_f32_e32 v21, v118, v127
	ds_store_2addr_b64 v38, v[0:1], v[4:5] offset0:180 offset1:210
	v_dual_sub_f32 v0, v6, v122 :: v_dual_sub_f32 v1, v7, v13
	v_dual_sub_f32 v4, v22, v8 :: v_dual_sub_f32 v5, v23, v9
	v_add_nc_u32_e32 v6, 0x400, v38
	scratch_store_b32 off, v38, off offset:304 ; 4-byte Folded Spill
	v_sub_f32_e32 v13, v131, v133
	v_dual_sub_f32 v22, v120, v121 :: v_dual_fmamk_f32 v23, v21, 0x3f737871, v19
	ds_store_2addr_b64 v6, v[0:1], v[4:5] offset0:112 offset1:142
	v_dual_sub_f32 v0, v116, v117 :: v_dual_sub_f32 v1, v123, v119
	scratch_store_b32 off, v6, off offset:292 ; 4-byte Folded Spill
	v_dual_sub_f32 v14, v128, v134 :: v_dual_add_f32 v5, v125, v128
	v_dual_fmac_f32 v23, 0x3f167918, v22 :: v_dual_add_f32 v6, v0, v1
	v_dual_sub_f32 v0, v118, v120 :: v_dual_sub_f32 v1, v127, v121
	s_delay_alu instid0(VALU_DEP_3) | instskip(SKIP_1) | instid1(VALU_DEP_4)
	v_add_f32_e32 v5, v5, v130
	v_fmac_f32_e32 v19, 0xbf737871, v21
	v_fmac_f32_e32 v23, 0x3e9e377a, v6
	v_sub_f32_e32 v108, v132, v134
	v_dual_add_f32 v7, v0, v1 :: v_dual_sub_f32 v0, v129, v131
	v_sub_f32_e32 v1, v135, v133
	v_add_f32_e32 v5, v5, v132
	v_fmac_f32_e32 v19, 0xbf167918, v22
	v_add_f32_e32 v107, v128, v134
	s_delay_alu instid0(VALU_DEP_4) | instskip(SKIP_3) | instid1(VALU_DEP_3)
	v_add_f32_e32 v8, v0, v1
	v_dual_sub_f32 v0, v128, v130 :: v_dual_sub_f32 v1, v134, v132
	v_add_f32_e32 v55, v5, v134
	v_fmac_f32_e32 v19, 0x3e9e377a, v6
	v_add_f32_e32 v9, v0, v1
	v_add_f32_e32 v0, v131, v133
	s_delay_alu instid0(VALU_DEP_1) | instskip(SKIP_1) | instid1(VALU_DEP_2)
	v_fma_f32 v10, -0.5, v0, v124
	v_add_f32_e32 v0, v130, v132
	v_fmamk_f32 v1, v14, 0x3f737871, v10
	s_delay_alu instid0(VALU_DEP_2) | instskip(SKIP_1) | instid1(VALU_DEP_3)
	v_fma_f32 v11, -0.5, v0, v125
	v_dual_fmac_f32 v10, 0xbf737871, v14 :: v_dual_fmac_f32 v125, -0.5, v107
	v_fmac_f32_e32 v1, 0x3f167918, v15
	s_delay_alu instid0(VALU_DEP_3) | instskip(SKIP_1) | instid1(VALU_DEP_4)
	v_fmamk_f32 v0, v12, 0xbf737871, v11
	v_dual_add_f32 v4, v124, v129 :: v_dual_fmac_f32 v11, 0x3f737871, v12
	v_fmac_f32_e32 v10, 0xbf167918, v15
	s_delay_alu instid0(VALU_DEP_4) | instskip(NEXT) | instid1(VALU_DEP_4)
	v_fmac_f32_e32 v1, 0x3e9e377a, v8
	v_fmac_f32_e32 v0, 0xbf167918, v13
	s_delay_alu instid0(VALU_DEP_4) | instskip(NEXT) | instid1(VALU_DEP_4)
	v_dual_add_f32 v4, v4, v131 :: v_dual_fmac_f32 v11, 0x3f167918, v13
	v_fmac_f32_e32 v10, 0x3e9e377a, v8
	s_delay_alu instid0(VALU_DEP_4) | instskip(NEXT) | instid1(VALU_DEP_4)
	v_mul_f32_e32 v17, 0xbf167918, v1
	v_fmac_f32_e32 v0, 0x3e9e377a, v9
	s_delay_alu instid0(VALU_DEP_4) | instskip(SKIP_2) | instid1(VALU_DEP_4)
	v_add_f32_e32 v4, v4, v133
	v_fmac_f32_e32 v11, 0x3e9e377a, v9
	v_mul_f32_e32 v6, 0xbf4f1bbd, v10
	v_mul_f32_e32 v16, 0x3f167918, v0
	v_fmac_f32_e32 v17, 0x3f4f1bbd, v0
	v_and_b32_e32 v0, 0xffff, v80
	v_add_f32_e32 v54, v4, v135
	v_sub_f32_e32 v80, v133, v135
	v_dual_fmac_f32 v16, 0x3f4f1bbd, v1 :: v_dual_add_f32 v1, v3, v118
	s_delay_alu instid0(VALU_DEP_4) | instskip(SKIP_1) | instid1(VALU_DEP_3)
	v_mul_u32_u24_e32 v0, 0x12c, v0
	v_fmac_f32_e32 v6, 0x3f167918, v11
	v_add_f32_e32 v4, v23, v16
	s_delay_alu instid0(VALU_DEP_4) | instskip(NEXT) | instid1(VALU_DEP_4)
	v_add_f32_e32 v1, v1, v120
	v_add_lshl_u32 v231, v0, v81, 3
	v_dual_add_f32 v0, v120, v121 :: v_dual_sub_f32 v81, v130, v128
	s_delay_alu instid0(VALU_DEP_3) | instskip(NEXT) | instid1(VALU_DEP_2)
	v_add_f32_e32 v1, v1, v121
	v_fma_f32 v18, -0.5, v0, v3
	s_delay_alu instid0(VALU_DEP_2) | instskip(NEXT) | instid1(VALU_DEP_2)
	v_dual_add_f32 v0, v2, v116 :: v_dual_add_f32 v27, v1, v127
	v_fmamk_f32 v26, v24, 0xbf737871, v18
	s_delay_alu instid0(VALU_DEP_2) | instskip(NEXT) | instid1(VALU_DEP_3)
	v_add_f32_e32 v0, v0, v117
	v_dual_fmac_f32 v18, 0x3f737871, v24 :: v_dual_add_f32 v1, v27, v55
	s_delay_alu instid0(VALU_DEP_3) | instskip(NEXT) | instid1(VALU_DEP_3)
	v_fmac_f32_e32 v26, 0xbf167918, v25
	v_add_f32_e32 v0, v0, v119
	s_delay_alu instid0(VALU_DEP_3) | instskip(NEXT) | instid1(VALU_DEP_3)
	v_fmac_f32_e32 v18, 0x3f167918, v25
	v_fmac_f32_e32 v26, 0x3e9e377a, v7
	s_delay_alu instid0(VALU_DEP_3) | instskip(NEXT) | instid1(VALU_DEP_3)
	v_add_f32_e32 v20, v0, v123
	v_fmac_f32_e32 v18, 0x3e9e377a, v7
	v_mul_f32_e32 v7, 0xbf4f1bbd, v11
	v_sub_f32_e32 v11, v106, v112
	s_delay_alu instid0(VALU_DEP_4) | instskip(NEXT) | instid1(VALU_DEP_3)
	v_dual_add_f32 v5, v26, v17 :: v_dual_add_f32 v0, v20, v54
	v_dual_fmac_f32 v7, 0xbf167918, v10 :: v_dual_sub_f32 v10, v100, v115
	ds_store_2addr_b64 v231, v[0:1], v[4:5] offset1:30
	v_add_f32_e32 v0, v118, v127
	v_dual_sub_f32 v1, v121, v127 :: v_dual_sub_f32 v4, v131, v129
	v_add_f32_e32 v5, v129, v135
	s_delay_alu instid0(VALU_DEP_3) | instskip(NEXT) | instid1(VALU_DEP_2)
	v_dual_fmac_f32 v3, -0.5, v0 :: v_dual_sub_f32 v0, v120, v118
	v_dual_fmac_f32 v124, -0.5, v5 :: v_dual_sub_f32 v5, v117, v116
	s_delay_alu instid0(VALU_DEP_2)
	v_dual_fmamk_f32 v117, v25, 0x3f737871, v3 :: v_dual_add_f32 v0, v0, v1
	v_add_f32_e32 v1, v4, v80
	v_dual_add_f32 v4, v81, v108 :: v_dual_add_f32 v81, v116, v123
	v_fmac_f32_e32 v3, 0xbf737871, v25
	v_fmamk_f32 v107, v15, 0xbf737871, v124
	v_fmac_f32_e32 v117, 0xbf167918, v24
	s_delay_alu instid0(VALU_DEP_4) | instskip(NEXT) | instid1(VALU_DEP_4)
	v_fma_f32 v2, -0.5, v81, v2
	v_fmac_f32_e32 v3, 0x3f167918, v24
	v_sub_f32_e32 v24, v99, v104
	v_fmac_f32_e32 v124, 0x3f737871, v15
	v_fmac_f32_e32 v107, 0x3f167918, v14
	v_fmamk_f32 v81, v22, 0xbf737871, v2
	v_fmac_f32_e32 v2, 0x3f737871, v22
	v_fmac_f32_e32 v3, 0x3e9e377a, v0
	;; [unrolled: 1-line block ×6, first 2 shown]
	v_dual_sub_f32 v21, v101, v109 :: v_dual_sub_f32 v80, v119, v123
	v_dual_fmac_f32 v124, 0x3e9e377a, v1 :: v_dual_fmac_f32 v117, 0x3e9e377a, v0
	s_delay_alu instid0(VALU_DEP_2) | instskip(SKIP_2) | instid1(VALU_DEP_4)
	v_add_f32_e32 v5, v5, v80
	v_fmamk_f32 v80, v13, 0x3f737871, v125
	v_fmac_f32_e32 v125, 0xbf737871, v13
	v_dual_mul_f32 v116, 0xbe9e377a, v124 :: v_dual_sub_f32 v13, v105, v110
	s_delay_alu instid0(VALU_DEP_4) | instskip(NEXT) | instid1(VALU_DEP_4)
	v_fmac_f32_e32 v2, 0x3e9e377a, v5
	v_fmac_f32_e32 v80, 0xbf167918, v12
	s_delay_alu instid0(VALU_DEP_4) | instskip(SKIP_1) | instid1(VALU_DEP_3)
	v_fmac_f32_e32 v125, 0x3f167918, v12
	v_dual_fmac_f32 v81, 0x3e9e377a, v5 :: v_dual_sub_f32 v12, v98, v114
	v_fmac_f32_e32 v80, 0x3e9e377a, v4
	s_delay_alu instid0(VALU_DEP_3) | instskip(NEXT) | instid1(VALU_DEP_2)
	v_fmac_f32_e32 v125, 0x3e9e377a, v4
	v_mul_f32_e32 v118, 0x3f737871, v80
	s_delay_alu instid0(VALU_DEP_2) | instskip(SKIP_1) | instid1(VALU_DEP_3)
	v_mul_f32_e32 v108, 0xbe9e377a, v125
	v_fmac_f32_e32 v116, 0x3f737871, v125
	v_fmac_f32_e32 v118, 0x3e9e377a, v107
	s_delay_alu instid0(VALU_DEP_3) | instskip(NEXT) | instid1(VALU_DEP_3)
	v_dual_mul_f32 v107, 0xbf737871, v107 :: v_dual_fmac_f32 v108, 0xbf737871, v124
	v_add_f32_e32 v0, v2, v116
	s_delay_alu instid0(VALU_DEP_2) | instskip(NEXT) | instid1(VALU_DEP_3)
	v_dual_add_f32 v4, v81, v118 :: v_dual_fmac_f32 v107, 0x3e9e377a, v80
	v_dual_add_f32 v1, v3, v108 :: v_dual_add_f32 v80, v98, v114
	s_delay_alu instid0(VALU_DEP_2)
	v_add_f32_e32 v5, v117, v107
	ds_store_2addr_b64 v231, v[4:5], v[0:1] offset0:60 offset1:90
	v_dual_sub_f32 v0, v20, v54 :: v_dual_sub_f32 v1, v27, v55
	v_dual_add_f32 v4, v19, v6 :: v_dual_add_f32 v5, v18, v7
	v_sub_f32_e32 v20, v97, v113
	v_sub_f32_e32 v55, v105, v98
	ds_store_2addr_b64 v231, v[4:5], v[0:1] offset0:120 offset1:150
	v_dual_sub_f32 v0, v23, v16 :: v_dual_sub_f32 v1, v26, v17
	v_sub_f32_e32 v4, v81, v118
	v_sub_f32_e32 v5, v117, v107
	v_add_f32_e32 v17, v83, v98
	v_sub_f32_e32 v23, v96, v111
	v_sub_f32_e32 v81, v110, v114
	ds_store_2addr_b64 v231, v[0:1], v[4:5] offset0:180 offset1:210
	v_sub_f32_e32 v1, v3, v108
	v_sub_f32_e32 v0, v2, v116
	v_dual_sub_f32 v2, v19, v6 :: v_dual_sub_f32 v3, v18, v7
	v_add_nc_u32_e32 v4, 0x400, v231
	v_dual_add_f32 v18, v99, v104 :: v_dual_add_f32 v17, v17, v105
	ds_store_2addr_b64 v4, v[0:1], v[2:3] offset0:112 offset1:142
	v_dual_sub_f32 v0, v96, v99 :: v_dual_sub_f32 v1, v111, v104
	scratch_store_b32 off, v4, off offset:296 ; 4-byte Folded Spill
	v_dual_add_f32 v2, v53, v97 :: v_dual_add_f32 v3, v82, v100
	v_fma_f32 v18, -0.5, v18, v52
	v_add_f32_e32 v4, v0, v1
	v_sub_f32_e32 v0, v97, v101
	v_sub_f32_e32 v1, v113, v109
	v_dual_add_f32 v2, v2, v101 :: v_dual_add_f32 v3, v3, v106
	v_dual_fmamk_f32 v22, v20, 0x3f737871, v18 :: v_dual_add_f32 v17, v17, v110
	s_delay_alu instid0(VALU_DEP_3) | instskip(SKIP_1) | instid1(VALU_DEP_4)
	v_add_f32_e32 v5, v0, v1
	v_dual_sub_f32 v0, v100, v106 :: v_dual_sub_f32 v1, v115, v112
	v_dual_add_f32 v2, v2, v109 :: v_dual_add_f32 v3, v3, v112
	s_delay_alu instid0(VALU_DEP_4) | instskip(NEXT) | instid1(VALU_DEP_3)
	v_dual_fmac_f32 v22, 0x3f167918, v21 :: v_dual_add_f32 v17, v17, v114
	v_add_f32_e32 v6, v0, v1
	v_sub_f32_e32 v0, v98, v105
	v_sub_f32_e32 v1, v114, v110
	v_dual_add_f32 v26, v2, v113 :: v_dual_add_f32 v27, v3, v115
	v_fmac_f32_e32 v22, 0x3e9e377a, v4
	s_delay_alu instid0(VALU_DEP_3) | instskip(SKIP_1) | instid1(VALU_DEP_2)
	v_dual_fmac_f32 v18, 0xbf737871, v20 :: v_dual_add_f32 v7, v0, v1
	v_add_f32_e32 v0, v106, v112
	v_fmac_f32_e32 v18, 0xbf167918, v21
	s_delay_alu instid0(VALU_DEP_2) | instskip(SKIP_1) | instid1(VALU_DEP_3)
	v_fma_f32 v8, -0.5, v0, v82
	v_add_f32_e32 v0, v105, v110
	v_fmac_f32_e32 v18, 0x3e9e377a, v4
	s_delay_alu instid0(VALU_DEP_3) | instskip(NEXT) | instid1(VALU_DEP_3)
	v_fmamk_f32 v1, v12, 0x3f737871, v8
	v_fma_f32 v9, -0.5, v0, v83
	v_fmac_f32_e32 v83, -0.5, v80
	v_fmac_f32_e32 v8, 0xbf737871, v12
	s_delay_alu instid0(VALU_DEP_4) | instskip(NEXT) | instid1(VALU_DEP_4)
	v_fmac_f32_e32 v1, 0x3f167918, v13
	v_fmamk_f32 v0, v10, 0xbf737871, v9
	v_fmac_f32_e32 v9, 0x3f737871, v10
	s_delay_alu instid0(VALU_DEP_4) | instskip(NEXT) | instid1(VALU_DEP_4)
	v_fmac_f32_e32 v8, 0xbf167918, v13
	v_fmac_f32_e32 v1, 0x3e9e377a, v6
	s_delay_alu instid0(VALU_DEP_4) | instskip(NEXT) | instid1(VALU_DEP_4)
	v_fmac_f32_e32 v0, 0xbf167918, v11
	v_fmac_f32_e32 v9, 0x3f167918, v11
	s_delay_alu instid0(VALU_DEP_4) | instskip(NEXT) | instid1(VALU_DEP_4)
	v_fmac_f32_e32 v8, 0x3e9e377a, v6
	v_mul_f32_e32 v15, 0xbf167918, v1
	s_delay_alu instid0(VALU_DEP_4) | instskip(NEXT) | instid1(VALU_DEP_4)
	v_fmac_f32_e32 v0, 0x3e9e377a, v7
	v_fmac_f32_e32 v9, 0x3e9e377a, v7
	s_delay_alu instid0(VALU_DEP_4) | instskip(NEXT) | instid1(VALU_DEP_3)
	v_mul_f32_e32 v4, 0xbf4f1bbd, v8
	v_mul_f32_e32 v14, 0x3f167918, v0
	v_fmac_f32_e32 v15, 0x3f4f1bbd, v0
	v_mad_u16 v0, 0x12c, v102, v103
	s_delay_alu instid0(VALU_DEP_4) | instskip(NEXT) | instid1(VALU_DEP_4)
	v_fmac_f32_e32 v4, 0x3f167918, v9
	v_fmac_f32_e32 v14, 0x3f4f1bbd, v1
	s_delay_alu instid0(VALU_DEP_3) | instskip(NEXT) | instid1(VALU_DEP_2)
	v_dual_add_f32 v1, v101, v109 :: v_dual_and_b32 v54, 0xffff, v0
	v_add_f32_e32 v2, v22, v14
	s_delay_alu instid0(VALU_DEP_2) | instskip(SKIP_1) | instid1(VALU_DEP_4)
	v_fma_f32 v16, -0.5, v1, v53
	v_add_f32_e32 v1, v52, v96
	v_dual_sub_f32 v54, v112, v115 :: v_dual_lshlrev_b32 v229, 3, v54
	s_delay_alu instid0(VALU_DEP_3) | instskip(NEXT) | instid1(VALU_DEP_3)
	v_fmamk_f32 v25, v23, 0xbf737871, v16
	v_add_f32_e32 v1, v1, v99
	v_fmac_f32_e32 v16, 0x3f737871, v23
	s_delay_alu instid0(VALU_DEP_3) | instskip(NEXT) | instid1(VALU_DEP_3)
	v_fmac_f32_e32 v25, 0xbf167918, v24
	v_add_f32_e32 v1, v1, v104
	s_delay_alu instid0(VALU_DEP_3) | instskip(NEXT) | instid1(VALU_DEP_3)
	v_fmac_f32_e32 v16, 0x3f167918, v24
	v_fmac_f32_e32 v25, 0x3e9e377a, v5
	s_delay_alu instid0(VALU_DEP_3) | instskip(SKIP_1) | instid1(VALU_DEP_4)
	v_add_f32_e32 v19, v1, v111
	v_add_f32_e32 v1, v26, v17
	v_fmac_f32_e32 v16, 0x3e9e377a, v5
	v_mul_f32_e32 v5, 0xbf4f1bbd, v9
	v_add_f32_e32 v3, v25, v15
	s_delay_alu instid0(VALU_DEP_2)
	v_dual_add_f32 v0, v19, v27 :: v_dual_fmac_f32 v5, 0xbf167918, v8
	v_mad_co_u64_u32 v[8:9], null, 0x48, v28, s[10:11]
	ds_store_2addr_b64 v229, v[0:1], v[2:3] offset1:30
	v_add_f32_e32 v0, v97, v113
	v_dual_sub_f32 v1, v109, v113 :: v_dual_sub_f32 v2, v106, v100
	v_add_f32_e32 v3, v100, v115
	s_delay_alu instid0(VALU_DEP_3) | instskip(NEXT) | instid1(VALU_DEP_2)
	v_dual_fmac_f32 v53, -0.5, v0 :: v_dual_sub_f32 v0, v101, v97
	v_dual_fmac_f32 v82, -0.5, v3 :: v_dual_sub_f32 v3, v99, v96
	s_delay_alu instid0(VALU_DEP_2) | instskip(SKIP_2) | instid1(VALU_DEP_4)
	v_dual_add_f32 v0, v0, v1 :: v_dual_add_f32 v1, v2, v54
	v_sub_f32_e32 v54, v104, v111
	v_add_f32_e32 v2, v55, v81
	v_fmamk_f32 v80, v13, 0xbf737871, v82
	v_dual_fmac_f32 v82, 0x3f737871, v13 :: v_dual_add_f32 v55, v96, v111
	s_delay_alu instid0(VALU_DEP_4) | instskip(SKIP_2) | instid1(VALU_DEP_4)
	v_add_f32_e32 v3, v3, v54
	v_fmamk_f32 v54, v11, 0x3f737871, v83
	v_fmac_f32_e32 v83, 0xbf737871, v11
	v_fmac_f32_e32 v82, 0xbf167918, v12
	v_fma_f32 v52, -0.5, v55, v52
	v_fmac_f32_e32 v80, 0x3f167918, v12
	v_fmac_f32_e32 v54, 0xbf167918, v10
	;; [unrolled: 1-line block ×4, first 2 shown]
	v_fmamk_f32 v55, v21, 0xbf737871, v52
	v_fmac_f32_e32 v52, 0x3f737871, v21
	v_fmac_f32_e32 v54, 0x3e9e377a, v2
	v_dual_fmac_f32 v83, 0x3e9e377a, v2 :: v_dual_fmac_f32 v80, 0x3e9e377a, v1
	s_delay_alu instid0(VALU_DEP_4) | instskip(NEXT) | instid1(VALU_DEP_4)
	v_fmac_f32_e32 v55, 0x3f167918, v20
	v_fmac_f32_e32 v52, 0xbf167918, v20
	s_delay_alu instid0(VALU_DEP_4) | instskip(NEXT) | instid1(VALU_DEP_4)
	v_mul_f32_e32 v96, 0x3f737871, v54
	v_mul_f32_e32 v81, 0xbe9e377a, v83
	s_delay_alu instid0(VALU_DEP_4) | instskip(NEXT) | instid1(VALU_DEP_4)
	v_fmac_f32_e32 v55, 0x3e9e377a, v3
	v_fmac_f32_e32 v52, 0x3e9e377a, v3
	s_delay_alu instid0(VALU_DEP_4) | instskip(NEXT) | instid1(VALU_DEP_4)
	v_fmac_f32_e32 v96, 0x3e9e377a, v80
	v_fmac_f32_e32 v81, 0xbf737871, v82
	v_mul_f32_e32 v82, 0xbe9e377a, v82
	v_mul_f32_e32 v80, 0xbf737871, v80
	s_delay_alu instid0(VALU_DEP_4) | instskip(NEXT) | instid1(VALU_DEP_3)
	v_add_f32_e32 v2, v55, v96
	v_dual_fmac_f32 v82, 0x3f737871, v83 :: v_dual_fmamk_f32 v83, v24, 0x3f737871, v53
	v_fmac_f32_e32 v53, 0xbf737871, v24
	s_delay_alu instid0(VALU_DEP_4) | instskip(NEXT) | instid1(VALU_DEP_3)
	v_fmac_f32_e32 v80, 0x3e9e377a, v54
	v_fmac_f32_e32 v83, 0xbf167918, v23
	s_delay_alu instid0(VALU_DEP_3) | instskip(NEXT) | instid1(VALU_DEP_2)
	v_fmac_f32_e32 v53, 0x3f167918, v23
	v_fmac_f32_e32 v83, 0x3e9e377a, v0
	s_delay_alu instid0(VALU_DEP_2) | instskip(NEXT) | instid1(VALU_DEP_2)
	v_dual_fmac_f32 v53, 0x3e9e377a, v0 :: v_dual_add_f32 v0, v52, v82
	v_add_f32_e32 v3, v83, v80
	s_delay_alu instid0(VALU_DEP_2)
	v_add_f32_e32 v1, v53, v81
	ds_store_2addr_b64 v229, v[2:3], v[0:1] offset0:60 offset1:90
	v_dual_sub_f32 v0, v19, v27 :: v_dual_sub_f32 v1, v26, v17
	v_dual_add_f32 v2, v18, v4 :: v_dual_add_f32 v3, v16, v5
	ds_store_2addr_b64 v229, v[2:3], v[0:1] offset0:120 offset1:150
	v_dual_sub_f32 v0, v22, v14 :: v_dual_sub_f32 v1, v25, v15
	v_sub_f32_e32 v2, v55, v96
	v_sub_f32_e32 v3, v83, v80
	ds_store_2addr_b64 v229, v[0:1], v[2:3] offset0:180 offset1:210
	v_dual_sub_f32 v1, v53, v81 :: v_dual_sub_f32 v0, v52, v82
	v_dual_sub_f32 v2, v18, v4 :: v_dual_sub_f32 v3, v16, v5
	v_add_nc_u32_e32 v4, 0x400, v229
	scratch_store_b32 off, v4, off offset:300 ; 4-byte Folded Spill
	ds_store_2addr_b64 v4, v[0:1], v[2:3] offset0:112 offset1:142
	global_wb scope:SCOPE_SE
	s_wait_storecnt_dscnt 0x0
	s_barrier_signal -1
	s_barrier_wait -1
	global_inv scope:SCOPE_SE
	s_clause 0x1
	global_load_b128 v[52:55], v[8:9], off offset:2320
	global_load_b128 v[80:83], v[8:9], off offset:2336
	ds_load_2addr_b64 v[0:3], v30 offset0:88 offset1:188
	s_clause 0x1
	global_load_b64 v[239:240], v[8:9], off offset:2384
	global_load_b128 v[96:99], v[8:9], off offset:9520
	s_wait_loadcnt_dscnt 0x300
	v_mul_f32_e32 v4, v1, v55
	v_mul_f32_e32 v7, v0, v55
	s_wait_loadcnt 0x0
	v_mul_f32_e32 v163, v2, v99
	s_delay_alu instid0(VALU_DEP_3) | instskip(NEXT) | instid1(VALU_DEP_3)
	v_fma_f32 v188, v0, v54, -v4
	v_dual_mul_f32 v0, v3, v99 :: v_dual_fmac_f32 v7, v1, v54
	s_delay_alu instid0(VALU_DEP_3) | instskip(NEXT) | instid1(VALU_DEP_2)
	v_fmac_f32_e32 v163, v3, v98
	v_fma_f32 v164, v2, v98, -v0
	ds_load_2addr_b64 v[0:3], v31 offset0:48 offset1:148
	s_clause 0x3
	global_load_b128 v[100:103], v[8:9], off offset:9536
	global_load_b128 v[112:115], v[8:9], off offset:9552
	;; [unrolled: 1-line block ×4, first 2 shown]
	s_wait_dscnt 0x0
	v_mul_f32_e32 v4, v1, v83
	v_mul_f32_e32 v13, v0, v83
	s_delay_alu instid0(VALU_DEP_2) | instskip(SKIP_1) | instid1(VALU_DEP_2)
	v_fma_f32 v38, v0, v82, -v4
	s_wait_loadcnt 0x3
	v_dual_fmac_f32 v13, v1, v82 :: v_dual_mul_f32 v0, v3, v103
	v_mul_f32_e32 v165, v2, v103
	s_delay_alu instid0(VALU_DEP_2) | instskip(NEXT) | instid1(VALU_DEP_2)
	v_fma_f32 v166, v2, v102, -v0
	v_fmac_f32_e32 v165, v3, v102
	ds_load_2addr_b64 v[0:3], v199 offset0:8 offset1:108
	s_wait_loadcnt_dscnt 0x100
	v_mul_f32_e32 v4, v1, v107
	v_mul_f32_e32 v15, v0, v107
	;; [unrolled: 1-line block ×3, first 2 shown]
	s_delay_alu instid0(VALU_DEP_3) | instskip(NEXT) | instid1(VALU_DEP_3)
	v_fma_f32 v14, v0, v106, -v4
	v_dual_mul_f32 v0, v3, v115 :: v_dual_fmac_f32 v15, v1, v106
	s_delay_alu instid0(VALU_DEP_3) | instskip(NEXT) | instid1(VALU_DEP_3)
	v_fmac_f32_e32 v167, v3, v114
	v_sub_f32_e32 v37, v38, v14
	s_delay_alu instid0(VALU_DEP_3)
	v_fma_f32 v168, v2, v114, -v0
	ds_load_2addr_b64 v[0:3], v29 offset0:96 offset1:196
	s_clause 0x1
	global_load_b64 v[243:244], v[8:9], off offset:9584
	global_load_b128 v[124:127], v[8:9], off offset:9568
	s_wait_loadcnt_dscnt 0x200
	v_mul_f32_e32 v4, v1, v119
	v_mul_f32_e32 v17, v0, v119
	s_delay_alu instid0(VALU_DEP_2) | instskip(NEXT) | instid1(VALU_DEP_2)
	v_fma_f32 v16, v0, v118, -v4
	v_fmac_f32_e32 v17, v1, v118
	s_delay_alu instid0(VALU_DEP_1) | instskip(SKIP_3) | instid1(VALU_DEP_2)
	v_dual_sub_f32 v31, v7, v17 :: v_dual_mov_b32 v248, v29
	s_wait_loadcnt 0x0
	v_mul_f32_e32 v0, v3, v127
	v_mul_f32_e32 v28, v2, v127
	v_fma_f32 v40, v2, v126, -v0
	s_delay_alu instid0(VALU_DEP_2)
	v_fmac_f32_e32 v28, v3, v126
	ds_load_2addr_b64 v[0:3], v193 offset0:144 offset1:244
	s_clause 0x1
	global_load_b128 v[108:111], v[8:9], off offset:16720
	global_load_b128 v[120:123], v[8:9], off offset:16736
	ds_load_2addr_b64 v[128:131], v191 offset0:104 offset1:204
	ds_load_2addr_b64 v[134:137], v195 offset0:64 offset1:164
	s_wait_dscnt 0x2
	v_mul_f32_e32 v5, v1, v97
	v_mul_f32_e32 v160, v0, v97
	s_wait_dscnt 0x1
	v_mul_f32_e32 v12, v128, v101
	s_wait_dscnt 0x0
	v_mul_f32_e32 v6, v134, v113
	v_fma_f32 v159, v0, v96, -v5
	v_fmac_f32_e32 v160, v1, v96
	v_fmac_f32_e32 v12, v129, v100
	s_delay_alu instid0(VALU_DEP_4)
	v_fmac_f32_e32 v6, v135, v112
	s_wait_loadcnt 0x1
	v_mul_f32_e32 v0, v3, v109
	v_mul_f32_e32 v156, v2, v109
	s_wait_loadcnt 0x0
	v_mul_f32_e32 v169, v130, v121
	s_delay_alu instid0(VALU_DEP_3) | instskip(NEXT) | instid1(VALU_DEP_3)
	v_fma_f32 v155, v2, v108, -v0
	v_fmac_f32_e32 v156, v3, v108
	ds_load_2addr_b64 v[0:3], v35 offset0:32 offset1:132
	v_fmac_f32_e32 v169, v131, v120
	v_sub_f32_e32 v35, v188, v16
	s_wait_dscnt 0x0
	v_mul_f32_e32 v5, v3, v81
	v_dual_mul_f32 v19, v2, v81 :: v_dual_mul_f32 v170, v0, v111
	s_delay_alu instid0(VALU_DEP_2) | instskip(NEXT) | instid1(VALU_DEP_2)
	v_fma_f32 v18, v2, v80, -v5
	v_dual_mul_f32 v2, v1, v111 :: v_dual_fmac_f32 v19, v3, v80
	s_delay_alu instid0(VALU_DEP_1) | instskip(SKIP_1) | instid1(VALU_DEP_1)
	v_fma_f32 v146, v0, v110, -v2
	v_mul_f32_e32 v0, v129, v101
	v_fma_f32 v255, v128, v100, -v0
	v_mul_f32_e32 v0, v131, v121
	s_delay_alu instid0(VALU_DEP_1) | instskip(SKIP_4) | instid1(VALU_DEP_2)
	v_fma_f32 v171, v130, v120, -v0
	ds_load_2addr_b64 v[128:131], v189 offset0:120 offset1:220
	s_wait_dscnt 0x0
	v_mul_f32_e32 v0, v131, v105
	v_dual_mul_f32 v21, v130, v105 :: v_dual_mul_f32 v148, v128, v123
	v_fma_f32 v20, v130, v104, -v0
	s_delay_alu instid0(VALU_DEP_2) | instskip(NEXT) | instid1(VALU_DEP_3)
	v_dual_mul_f32 v0, v129, v123 :: v_dual_fmac_f32 v21, v131, v104
	v_fmac_f32_e32 v148, v129, v122
	s_delay_alu instid0(VALU_DEP_2) | instskip(SKIP_1) | instid1(VALU_DEP_1)
	v_fma_f32 v147, v128, v122, -v0
	v_mul_f32_e32 v0, v135, v113
	v_fma_f32 v36, v134, v112, -v0
	s_clause 0x2
	global_load_b128 v[128:131], v[8:9], off offset:16752
	global_load_b128 v[132:135], v[8:9], off offset:16768
	global_load_b64 v[241:242], v[8:9], off offset:16784
	s_wait_loadcnt 0x2
	v_mul_f32_e32 v0, v137, v129
	v_mul_f32_e32 v150, v136, v129
	s_delay_alu instid0(VALU_DEP_2) | instskip(NEXT) | instid1(VALU_DEP_2)
	v_fma_f32 v149, v136, v128, -v0
	v_fmac_f32_e32 v150, v137, v128
	ds_load_2addr_b64 v[136:139], v33 offset0:80 offset1:180
	s_wait_dscnt 0x0
	v_dual_sub_f32 v33, v13, v15 :: v_dual_mul_f32 v0, v139, v117
	v_dual_mul_f32 v23, v138, v117 :: v_dual_mul_f32 v152, v136, v131
	s_delay_alu instid0(VALU_DEP_2) | instskip(NEXT) | instid1(VALU_DEP_2)
	v_fma_f32 v22, v138, v116, -v0
	v_dual_mul_f32 v0, v137, v131 :: v_dual_fmac_f32 v23, v139, v116
	s_delay_alu instid0(VALU_DEP_3) | instskip(NEXT) | instid1(VALU_DEP_3)
	v_fmac_f32_e32 v152, v137, v130
	v_sub_f32_e32 v212, v20, v22
	s_delay_alu instid0(VALU_DEP_3)
	v_fma_f32 v151, v136, v130, -v0
	ds_load_2addr_b64 v[136:139], v250 offset0:152 offset1:252
	v_sub_f32_e32 v29, v21, v23
	v_sub_f32_e32 v42, v147, v151
	s_wait_dscnt 0x0
	v_mul_f32_e32 v0, v137, v125
	s_wait_loadcnt 0x1
	v_mul_f32_e32 v154, v138, v133
	v_mul_f32_e32 v5, v136, v125
	s_delay_alu instid0(VALU_DEP_3) | instskip(NEXT) | instid1(VALU_DEP_3)
	v_fma_f32 v184, v136, v124, -v0
	v_fmac_f32_e32 v154, v139, v132
	s_delay_alu instid0(VALU_DEP_3) | instskip(SKIP_1) | instid1(VALU_DEP_2)
	v_dual_mul_f32 v0, v139, v133 :: v_dual_fmac_f32 v5, v137, v124
	v_fmac_f32_e32 v170, v1, v110
	v_fma_f32 v153, v138, v132, -v0
	ds_load_2addr_b64 v[136:139], v32 offset0:40 offset1:140
	s_wait_dscnt 0x0
	v_mul_f32_e32 v0, v139, v240
	v_dual_mul_f32 v25, v138, v240 :: v_dual_mul_f32 v158, v136, v135
	s_delay_alu instid0(VALU_DEP_2) | instskip(SKIP_1) | instid1(VALU_DEP_3)
	v_fma_f32 v24, v138, v239, -v0
	v_mul_f32_e32 v0, v137, v135
	v_dual_fmac_f32 v25, v139, v239 :: v_dual_fmac_f32 v158, v137, v134
	s_delay_alu instid0(VALU_DEP_3) | instskip(NEXT) | instid1(VALU_DEP_3)
	v_sub_f32_e32 v200, v18, v24
	v_fma_f32 v157, v136, v134, -v0
	ds_load_2addr_b64 v[136:139], v211 offset0:112 offset1:212
	v_sub_f32_e32 v2, v19, v25
	v_sub_f32_e32 v4, v146, v157
	s_wait_dscnt 0x0
	v_mul_f32_e32 v0, v137, v244
	s_wait_loadcnt 0x0
	v_dual_mul_f32 v3, v136, v244 :: v_dual_mul_f32 v8, v139, v242
	v_mul_f32_e32 v162, v138, v242
	s_delay_alu instid0(VALU_DEP_3) | instskip(NEXT) | instid1(VALU_DEP_3)
	v_fma_f32 v186, v136, v243, -v0
	v_fmac_f32_e32 v3, v137, v243
	s_delay_alu instid0(VALU_DEP_4) | instskip(NEXT) | instid1(VALU_DEP_4)
	v_fma_f32 v161, v138, v241, -v8
	v_fmac_f32_e32 v162, v139, v241
	ds_load_2addr_b64 v[136:139], v245 offset0:72 offset1:172
	s_wait_dscnt 0x0
	v_mul_f32_e32 v8, v139, v53
	v_mul_f32_e32 v27, v138, v53
	s_delay_alu instid0(VALU_DEP_2) | instskip(NEXT) | instid1(VALU_DEP_2)
	v_fma_f32 v26, v138, v52, -v8
	v_fmac_f32_e32 v27, v139, v52
	ds_load_2addr_b64 v[138:141], v246 offset1:100
	v_dual_add_f32 v10, v26, v18 :: v_dual_add_f32 v11, v27, v19
	s_delay_alu instid0(VALU_DEP_1) | instskip(NEXT) | instid1(VALU_DEP_1)
	v_dual_add_f32 v10, v10, v20 :: v_dual_add_f32 v11, v11, v21
	v_dual_add_f32 v10, v10, v22 :: v_dual_add_f32 v11, v11, v23
	s_delay_alu instid0(VALU_DEP_1) | instskip(SKIP_2) | instid1(VALU_DEP_1)
	v_dual_add_f32 v10, v10, v24 :: v_dual_add_f32 v11, v11, v25
	s_wait_dscnt 0x0
	v_dual_add_f32 v8, v138, v188 :: v_dual_add_f32 v9, v139, v7
	v_dual_add_f32 v8, v8, v38 :: v_dual_add_f32 v9, v9, v13
	s_delay_alu instid0(VALU_DEP_1) | instskip(NEXT) | instid1(VALU_DEP_1)
	v_dual_add_f32 v8, v8, v14 :: v_dual_add_f32 v9, v9, v15
	v_dual_add_f32 v8, v8, v16 :: v_dual_add_f32 v9, v9, v17
	s_delay_alu instid0(VALU_DEP_1) | instskip(SKIP_3) | instid1(VALU_DEP_1)
	v_dual_add_f32 v142, v8, v10 :: v_dual_add_f32 v143, v9, v11
	v_dual_sub_f32 v144, v8, v10 :: v_dual_sub_f32 v145, v9, v11
	v_sub_f32_e32 v8, v188, v38
	v_sub_f32_e32 v9, v16, v14
	v_add_f32_e32 v185, v8, v9
	v_dual_sub_f32 v8, v7, v13 :: v_dual_sub_f32 v9, v17, v15
	s_delay_alu instid0(VALU_DEP_1) | instskip(SKIP_1) | instid1(VALU_DEP_1)
	v_dual_add_f32 v187, v8, v9 :: v_dual_sub_f32 v8, v18, v20
	v_sub_f32_e32 v9, v24, v22
	v_add_f32_e32 v190, v8, v9
	v_dual_sub_f32 v8, v19, v21 :: v_dual_sub_f32 v9, v25, v23
	s_delay_alu instid0(VALU_DEP_1) | instskip(SKIP_1) | instid1(VALU_DEP_1)
	v_add_f32_e32 v192, v8, v9
	v_add_f32_e32 v8, v20, v22
	v_fma_f32 v194, -0.5, v8, v26
	s_delay_alu instid0(VALU_DEP_1) | instskip(NEXT) | instid1(VALU_DEP_1)
	v_dual_add_f32 v8, v21, v23 :: v_dual_fmamk_f32 v9, v2, 0x3f737871, v194
	v_fma_f32 v196, -0.5, v8, v27
	v_fmac_f32_e32 v194, 0xbf737871, v2
	s_delay_alu instid0(VALU_DEP_3) | instskip(NEXT) | instid1(VALU_DEP_3)
	v_fmac_f32_e32 v9, 0x3f167918, v29
	v_fmamk_f32 v8, v200, 0xbf737871, v196
	s_delay_alu instid0(VALU_DEP_3) | instskip(SKIP_1) | instid1(VALU_DEP_4)
	v_fmac_f32_e32 v194, 0xbf167918, v29
	v_fmac_f32_e32 v196, 0x3f737871, v200
	v_fmac_f32_e32 v9, 0x3e9e377a, v190
	s_delay_alu instid0(VALU_DEP_4) | instskip(NEXT) | instid1(VALU_DEP_4)
	v_fmac_f32_e32 v8, 0xbf167918, v212
	v_fmac_f32_e32 v194, 0x3e9e377a, v190
	v_sub_f32_e32 v190, v166, v168
	v_fmac_f32_e32 v196, 0x3f167918, v212
	v_mul_f32_e32 v11, 0xbf167918, v9
	v_fmac_f32_e32 v8, 0x3e9e377a, v192
	s_delay_alu instid0(VALU_DEP_3) | instskip(NEXT) | instid1(VALU_DEP_2)
	v_fmac_f32_e32 v196, 0x3e9e377a, v192
	v_mul_f32_e32 v10, 0x3f167918, v8
	s_delay_alu instid0(VALU_DEP_4) | instskip(NEXT) | instid1(VALU_DEP_2)
	v_dual_fmac_f32 v11, 0x3f4f1bbd, v8 :: v_dual_add_f32 v8, v38, v14
	v_fmac_f32_e32 v10, 0x3f4f1bbd, v9
	s_delay_alu instid0(VALU_DEP_2) | instskip(NEXT) | instid1(VALU_DEP_1)
	v_fma_f32 v30, -0.5, v8, v138
	v_dual_add_f32 v8, v13, v15 :: v_dual_fmamk_f32 v1, v31, 0x3f737871, v30
	s_delay_alu instid0(VALU_DEP_1) | instskip(SKIP_1) | instid1(VALU_DEP_3)
	v_fma_f32 v34, -0.5, v8, v139
	v_fmac_f32_e32 v30, 0xbf737871, v31
	v_fmac_f32_e32 v1, 0x3f167918, v33
	s_delay_alu instid0(VALU_DEP_3) | instskip(SKIP_1) | instid1(VALU_DEP_4)
	v_fmamk_f32 v0, v35, 0xbf737871, v34
	v_fmac_f32_e32 v34, 0x3f737871, v35
	v_fmac_f32_e32 v30, 0xbf167918, v33
	s_delay_alu instid0(VALU_DEP_4) | instskip(NEXT) | instid1(VALU_DEP_4)
	v_fmac_f32_e32 v1, 0x3e9e377a, v185
	v_fmac_f32_e32 v0, 0xbf167918, v37
	s_delay_alu instid0(VALU_DEP_4) | instskip(NEXT) | instid1(VALU_DEP_4)
	;; [unrolled: 3-line block ×3, first 2 shown]
	v_add_f32_e32 v8, v1, v10
	v_fmac_f32_e32 v0, 0x3e9e377a, v187
	v_dual_sub_f32 v10, v1, v10 :: v_dual_sub_f32 v1, v14, v16
	v_add_f32_e32 v14, v188, v16
	v_fmac_f32_e32 v34, 0x3e9e377a, v187
	s_delay_alu instid0(VALU_DEP_4) | instskip(SKIP_2) | instid1(VALU_DEP_2)
	v_add_f32_e32 v9, v0, v11
	v_dual_sub_f32 v11, v0, v11 :: v_dual_sub_f32 v0, v38, v188
	v_sub_f32_e32 v187, v164, v40
	v_add_f32_e32 v16, v0, v1
	v_dual_sub_f32 v0, v13, v7 :: v_dual_add_f32 v1, v7, v17
	v_sub_f32_e32 v7, v15, v17
	v_sub_f32_e32 v13, v20, v18
	v_dual_add_f32 v15, v18, v24 :: v_dual_sub_f32 v18, v21, v19
	v_add_f32_e32 v19, v19, v25
	v_dual_sub_f32 v17, v22, v24 :: v_dual_sub_f32 v20, v23, v25
	s_delay_alu instid0(VALU_DEP_3) | instskip(SKIP_1) | instid1(VALU_DEP_4)
	v_fmac_f32_e32 v26, -0.5, v15
	v_add_f32_e32 v7, v0, v7
	v_fmac_f32_e32 v27, -0.5, v19
	s_delay_alu instid0(VALU_DEP_4)
	v_add_f32_e32 v13, v13, v17
	v_add_f32_e32 v17, v18, v20
	v_fmamk_f32 v15, v29, 0xbf737871, v26
	v_fma_f32 v20, -0.5, v1, v139
	v_fmamk_f32 v0, v212, 0x3f737871, v27
	v_fmac_f32_e32 v26, 0x3f737871, v29
	v_fma_f32 v19, -0.5, v14, v138
	v_fmac_f32_e32 v27, 0xbf737871, v212
	v_fmamk_f32 v21, v37, 0x3f737871, v20
	v_fmac_f32_e32 v0, 0xbf167918, v200
	v_fmac_f32_e32 v20, 0xbf737871, v37
	;; [unrolled: 1-line block ×4, first 2 shown]
	v_fmamk_f32 v14, v33, 0xbf737871, v19
	v_fmac_f32_e32 v0, 0x3e9e377a, v17
	v_fmac_f32_e32 v21, 0xbf167918, v35
	;; [unrolled: 1-line block ×7, first 2 shown]
	v_mul_f32_e32 v18, 0x3f737871, v0
	v_fmac_f32_e32 v14, 0x3f167918, v31
	v_fmac_f32_e32 v21, 0x3e9e377a, v7
	v_fmac_f32_e32 v19, 0xbf167918, v31
	v_dual_fmac_f32 v20, 0x3e9e377a, v7 :: v_dual_fmac_f32 v27, 0x3e9e377a, v17
	v_mul_f32_e32 v7, 0xbe9e377a, v26
	v_fmac_f32_e32 v18, 0x3e9e377a, v15
	v_mul_f32_e32 v15, 0xbf737871, v15
	v_fmac_f32_e32 v14, 0x3e9e377a, v16
	v_fmac_f32_e32 v19, 0x3e9e377a, v16
	;; [unrolled: 1-line block ×3, first 2 shown]
	v_mul_f32_e32 v13, 0xbe9e377a, v27
	s_delay_alu instid0(VALU_DEP_4) | instskip(SKIP_1) | instid1(VALU_DEP_4)
	v_dual_fmac_f32 v15, 0x3e9e377a, v0 :: v_dual_add_f32 v0, v14, v18
	v_sub_f32_e32 v14, v14, v18
	v_add_f32_e32 v16, v19, v7
	v_sub_f32_e32 v18, v19, v7
	v_dual_mul_f32 v2, 0xbf4f1bbd, v194 :: v_dual_mul_f32 v7, 0xbf4f1bbd, v196
	v_fmac_f32_e32 v13, 0xbf737871, v26
	v_add_f32_e32 v1, v21, v15
	s_delay_alu instid0(VALU_DEP_3) | instskip(NEXT) | instid1(VALU_DEP_4)
	v_dual_sub_f32 v15, v21, v15 :: v_dual_fmac_f32 v2, 0x3f167918, v196
	v_fmac_f32_e32 v7, 0xbf167918, v194
	s_delay_alu instid0(VALU_DEP_4) | instskip(SKIP_1) | instid1(VALU_DEP_4)
	v_add_f32_e32 v17, v20, v13
	v_sub_f32_e32 v19, v20, v13
	v_dual_sub_f32 v35, v171, v161 :: v_dual_add_f32 v20, v30, v2
	s_delay_alu instid0(VALU_DEP_4)
	v_add_f32_e32 v21, v34, v7
	v_sub_f32_e32 v22, v30, v2
	v_sub_f32_e32 v23, v34, v7
	ds_store_b64 v246, v[8:9] offset:2400
	ds_store_b64 v246, v[0:1] offset:4800
	;; [unrolled: 1-line block ×9, first 2 shown]
	v_dual_add_f32 v0, v140, v164 :: v_dual_add_f32 v1, v141, v163
	v_dual_add_f32 v7, v160, v12 :: v_dual_sub_f32 v22, v255, v186
	v_add_f32_e32 v2, v159, v255
	s_delay_alu instid0(VALU_DEP_3) | instskip(SKIP_2) | instid1(VALU_DEP_3)
	v_dual_add_f32 v0, v0, v166 :: v_dual_add_f32 v1, v1, v165
	v_sub_f32_e32 v23, v36, v184
	v_sub_f32_e32 v37, v149, v153
	v_dual_sub_f32 v145, v165, v167 :: v_dual_add_f32 v0, v0, v168
	s_delay_alu instid0(VALU_DEP_1) | instskip(NEXT) | instid1(VALU_DEP_1)
	v_dual_add_f32 v1, v1, v167 :: v_dual_add_f32 v32, v0, v40
	v_dual_add_f32 v13, v1, v28 :: v_dual_sub_f32 v0, v164, v166
	v_sub_f32_e32 v1, v40, v168
	s_delay_alu instid0(VALU_DEP_1) | instskip(SKIP_1) | instid1(VALU_DEP_1)
	v_add_f32_e32 v16, v0, v1
	v_dual_sub_f32 v0, v163, v165 :: v_dual_sub_f32 v1, v28, v167
	v_add_f32_e32 v17, v0, v1
	v_add_f32_e32 v7, v7, v6
	v_sub_f32_e32 v0, v255, v36
	v_sub_f32_e32 v1, v186, v184
	;; [unrolled: 1-line block ×3, first 2 shown]
	s_delay_alu instid0(VALU_DEP_4) | instskip(NEXT) | instid1(VALU_DEP_3)
	v_add_f32_e32 v7, v7, v5
	v_add_f32_e32 v18, v0, v1
	v_sub_f32_e32 v1, v3, v5
	s_delay_alu instid0(VALU_DEP_3) | instskip(NEXT) | instid1(VALU_DEP_1)
	v_dual_add_f32 v15, v7, v3 :: v_dual_add_f32 v2, v2, v36
	v_add_f32_e32 v2, v2, v184
	s_delay_alu instid0(VALU_DEP_1) | instskip(SKIP_1) | instid1(VALU_DEP_2)
	v_add_f32_e32 v14, v2, v186
	v_add_f32_e32 v2, v164, v40
	;; [unrolled: 1-line block ×3, first 2 shown]
	v_sub_f32_e32 v0, v12, v6
	v_sub_f32_e32 v24, v12, v3
	s_delay_alu instid0(VALU_DEP_2) | instskip(SKIP_1) | instid1(VALU_DEP_1)
	v_add_f32_e32 v19, v0, v1
	v_add_f32_e32 v0, v36, v184
	v_fma_f32 v20, -0.5, v0, v159
	v_add_f32_e32 v0, v6, v5
	v_sub_f32_e32 v6, v6, v12
	v_add_f32_e32 v12, v12, v3
	v_sub_f32_e32 v3, v5, v3
	v_fmamk_f32 v1, v24, 0x3f737871, v20
	v_fma_f32 v21, -0.5, v0, v160
	s_delay_alu instid0(VALU_DEP_4) | instskip(NEXT) | instid1(VALU_DEP_3)
	v_fmac_f32_e32 v160, -0.5, v12
	v_dual_add_f32 v6, v6, v3 :: v_dual_fmac_f32 v1, 0x3f167918, v25
	s_delay_alu instid0(VALU_DEP_3) | instskip(SKIP_1) | instid1(VALU_DEP_3)
	v_fmamk_f32 v0, v22, 0xbf737871, v21
	v_fmac_f32_e32 v21, 0x3f737871, v22
	v_fmac_f32_e32 v1, 0x3e9e377a, v18
	s_delay_alu instid0(VALU_DEP_3) | instskip(NEXT) | instid1(VALU_DEP_3)
	v_fmac_f32_e32 v0, 0xbf167918, v23
	v_fmac_f32_e32 v21, 0x3f167918, v23
	s_delay_alu instid0(VALU_DEP_3) | instskip(NEXT) | instid1(VALU_DEP_3)
	v_mul_f32_e32 v27, 0xbf167918, v1
	v_fmac_f32_e32 v0, 0x3e9e377a, v19
	v_add_f32_e32 v8, v13, v15
	s_delay_alu instid0(VALU_DEP_4) | instskip(NEXT) | instid1(VALU_DEP_3)
	v_dual_sub_f32 v200, v148, v152 :: v_dual_fmac_f32 v21, 0x3e9e377a, v19
	v_mul_f32_e32 v26, 0x3f167918, v0
	v_dual_fmac_f32 v27, 0x3f4f1bbd, v0 :: v_dual_sub_f32 v0, v146, v147
	ds_store_2addr_b64 v246, v[142:143], v[7:8] offset1:100
	v_dual_sub_f32 v143, v163, v28 :: v_dual_fmac_f32 v26, 0x3f4f1bbd, v1
	v_sub_f32_e32 v1, v157, v151
	s_delay_alu instid0(VALU_DEP_1) | instskip(SKIP_2) | instid1(VALU_DEP_2)
	v_dual_add_f32 v11, v0, v1 :: v_dual_sub_f32 v0, v170, v148
	v_sub_f32_e32 v1, v158, v152
	v_sub_f32_e32 v39, v150, v154
	v_dual_sub_f32 v38, v169, v162 :: v_dual_add_f32 v29, v0, v1
	v_sub_f32_e32 v0, v171, v149
	v_dual_sub_f32 v1, v161, v153 :: v_dual_sub_f32 v194, v170, v158
	s_delay_alu instid0(VALU_DEP_1) | instskip(SKIP_2) | instid1(VALU_DEP_1)
	v_add_f32_e32 v30, v0, v1
	v_sub_f32_e32 v0, v169, v150
	v_sub_f32_e32 v1, v162, v154
	v_add_f32_e32 v31, v0, v1
	v_add_f32_e32 v0, v149, v153
	s_delay_alu instid0(VALU_DEP_1) | instskip(SKIP_1) | instid1(VALU_DEP_2)
	v_fma_f32 v33, -0.5, v0, v155
	v_add_f32_e32 v0, v150, v154
	v_fmamk_f32 v1, v38, 0x3f737871, v33
	s_delay_alu instid0(VALU_DEP_2) | instskip(SKIP_1) | instid1(VALU_DEP_3)
	v_fma_f32 v34, -0.5, v0, v156
	v_fmac_f32_e32 v33, 0xbf737871, v38
	v_fmac_f32_e32 v1, 0x3f167918, v39
	s_delay_alu instid0(VALU_DEP_3) | instskip(SKIP_1) | instid1(VALU_DEP_4)
	v_fmamk_f32 v0, v35, 0xbf737871, v34
	v_fmac_f32_e32 v34, 0x3f737871, v35
	v_fmac_f32_e32 v33, 0xbf167918, v39
	s_delay_alu instid0(VALU_DEP_4) | instskip(NEXT) | instid1(VALU_DEP_4)
	v_fmac_f32_e32 v1, 0x3e9e377a, v30
	v_fmac_f32_e32 v0, 0xbf167918, v37
	s_delay_alu instid0(VALU_DEP_4) | instskip(NEXT) | instid1(VALU_DEP_4)
	;; [unrolled: 3-line block ×3, first 2 shown]
	v_mul_f32_e32 v139, 0xbf167918, v1
	v_fmac_f32_e32 v0, 0x3e9e377a, v31
	s_delay_alu instid0(VALU_DEP_4) | instskip(NEXT) | instid1(VALU_DEP_2)
	v_fmac_f32_e32 v34, 0x3e9e377a, v31
	v_mul_f32_e32 v138, 0x3f167918, v0
	s_delay_alu instid0(VALU_DEP_4) | instskip(SKIP_1) | instid1(VALU_DEP_3)
	v_fmac_f32_e32 v139, 0x3f4f1bbd, v0
	v_add_f32_e32 v0, v166, v168
	v_dual_fmac_f32 v138, 0x3f4f1bbd, v1 :: v_dual_sub_f32 v1, v168, v40
	s_delay_alu instid0(VALU_DEP_2) | instskip(SKIP_3) | instid1(VALU_DEP_4)
	v_fma_f32 v142, -0.5, v0, v140
	v_add_f32_e32 v0, v165, v167
	v_add_f32_e32 v40, v155, v171
	v_fma_f32 v140, -0.5, v2, v140
	v_fmamk_f32 v144, v143, 0x3f737871, v142
	s_delay_alu instid0(VALU_DEP_4) | instskip(SKIP_2) | instid1(VALU_DEP_4)
	v_fma_f32 v185, -0.5, v0, v141
	v_add_f32_e32 v0, v147, v151
	v_fmac_f32_e32 v142, 0xbf737871, v143
	v_fmac_f32_e32 v144, 0x3f167918, v145
	s_delay_alu instid0(VALU_DEP_4) | instskip(NEXT) | instid1(VALU_DEP_4)
	v_fmamk_f32 v188, v187, 0xbf737871, v185
	v_fma_f32 v192, -0.5, v0, v136
	v_add_f32_e32 v0, v148, v152
	v_fmac_f32_e32 v142, 0xbf167918, v145
	v_fmac_f32_e32 v144, 0x3e9e377a, v16
	;; [unrolled: 1-line block ×3, first 2 shown]
	v_fmamk_f32 v196, v194, 0x3f737871, v192
	v_fma_f32 v212, -0.5, v0, v137
	s_delay_alu instid0(VALU_DEP_4) | instskip(NEXT) | instid1(VALU_DEP_4)
	v_dual_sub_f32 v0, v166, v164 :: v_dual_add_f32 v7, v144, v26
	v_fmac_f32_e32 v188, 0x3e9e377a, v17
	s_delay_alu instid0(VALU_DEP_4) | instskip(NEXT) | instid1(VALU_DEP_4)
	v_fmac_f32_e32 v196, 0x3f167918, v200
	v_fmamk_f32 v41, v4, 0xbf737871, v212
	v_fmac_f32_e32 v212, 0x3f737871, v4
	v_fmac_f32_e32 v192, 0xbf737871, v194
	v_add_f32_e32 v8, v188, v27
	v_fmac_f32_e32 v196, 0x3e9e377a, v11
	v_fmac_f32_e32 v41, 0xbf167918, v42
	;; [unrolled: 1-line block ×4, first 2 shown]
	s_delay_alu instid0(VALU_DEP_4) | instskip(NEXT) | instid1(VALU_DEP_4)
	v_dual_fmac_f32 v192, 0xbf167918, v200 :: v_dual_add_f32 v9, v196, v138
	v_fmac_f32_e32 v41, 0x3e9e377a, v29
	s_delay_alu instid0(VALU_DEP_4) | instskip(SKIP_1) | instid1(VALU_DEP_4)
	v_dual_fmac_f32 v212, 0x3e9e377a, v29 :: v_dual_mov_b32 v29, v195
	v_mul_f32_e32 v16, 0xbf4f1bbd, v34
	v_fmac_f32_e32 v192, 0x3e9e377a, v11
	s_delay_alu instid0(VALU_DEP_4) | instskip(SKIP_1) | instid1(VALU_DEP_4)
	v_dual_add_f32 v10, v41, v139 :: v_dual_mul_f32 v11, 0xbf4f1bbd, v33
	v_fmac_f32_e32 v185, 0x3f737871, v187
	v_fmac_f32_e32 v16, 0xbf167918, v33
	v_add_nc_u32_e32 v33, 0x1000, v246
	ds_store_2addr_b64 v193, v[7:8], v[9:10] offset0:144 offset1:244
	v_dual_add_f32 v7, v0, v1 :: v_dual_add_f32 v0, v163, v28
	v_add_f32_e32 v9, v255, v186
	v_dual_sub_f32 v1, v167, v28 :: v_dual_sub_f32 v8, v36, v255
	s_delay_alu instid0(VALU_DEP_3) | instskip(NEXT) | instid1(VALU_DEP_3)
	v_dual_sub_f32 v10, v184, v186 :: v_dual_fmac_f32 v141, -0.5, v0
	v_dual_sub_f32 v0, v165, v163 :: v_dual_fmac_f32 v159, -0.5, v9
	v_add_f32_e32 v28, v137, v170
	s_delay_alu instid0(VALU_DEP_3) | instskip(SKIP_1) | instid1(VALU_DEP_4)
	v_add_f32_e32 v8, v8, v10
	v_add_f32_e32 v163, v156, v169
	v_dual_add_f32 v5, v0, v1 :: v_dual_fmamk_f32 v0, v23, 0x3f737871, v160
	v_fmamk_f32 v1, v25, 0xbf737871, v159
	v_fmac_f32_e32 v159, 0x3f737871, v25
	v_fmac_f32_e32 v160, 0xbf737871, v23
	v_fmamk_f32 v167, v145, 0xbf737871, v140
	v_fmac_f32_e32 v0, 0xbf167918, v22
	v_fmac_f32_e32 v1, 0x3f167918, v24
	;; [unrolled: 1-line block ×3, first 2 shown]
	s_delay_alu instid0(VALU_DEP_4) | instskip(NEXT) | instid1(VALU_DEP_3)
	v_dual_fmac_f32 v160, 0x3f167918, v22 :: v_dual_fmac_f32 v167, 0x3f167918, v143
	v_dual_fmac_f32 v0, 0x3e9e377a, v6 :: v_dual_fmac_f32 v1, 0x3e9e377a, v8
	s_delay_alu instid0(VALU_DEP_3) | instskip(NEXT) | instid1(VALU_DEP_3)
	v_fmac_f32_e32 v140, 0xbf167918, v143
	v_dual_fmac_f32 v160, 0x3e9e377a, v6 :: v_dual_fmac_f32 v167, 0x3e9e377a, v7
	s_delay_alu instid0(VALU_DEP_3) | instskip(NEXT) | instid1(VALU_DEP_4)
	v_mul_f32_e32 v9, 0x3f737871, v0
	v_mul_f32_e32 v10, 0xbf737871, v1
	s_delay_alu instid0(VALU_DEP_4) | instskip(NEXT) | instid1(VALU_DEP_4)
	v_fmac_f32_e32 v140, 0x3e9e377a, v7
	v_mul_f32_e32 v6, 0xbe9e377a, v160
	v_add_nc_u32_e32 v184, 0x1400, v246
	s_delay_alu instid0(VALU_DEP_4) | instskip(SKIP_4) | instid1(VALU_DEP_3)
	v_dual_fmac_f32 v9, 0x3e9e377a, v1 :: v_dual_fmac_f32 v10, 0x3e9e377a, v0
	v_sub_f32_e32 v0, v147, v146
	v_sub_f32_e32 v1, v151, v157
	v_fmac_f32_e32 v185, 0x3f167918, v190
	v_dual_fmac_f32 v11, 0x3f167918, v34 :: v_dual_mov_b32 v34, v247
	v_add_f32_e32 v12, v0, v1
	v_add_f32_e32 v0, v170, v158
	v_sub_f32_e32 v1, v152, v158
	v_fmac_f32_e32 v185, 0x3e9e377a, v17
	s_delay_alu instid0(VALU_DEP_3) | instskip(NEXT) | instid1(VALU_DEP_1)
	v_dual_fmac_f32 v137, -0.5, v0 :: v_dual_sub_f32 v0, v148, v170
	v_add_f32_e32 v36, v0, v1
	v_add_f32_e32 v0, v171, v161
	v_sub_f32_e32 v1, v153, v161
	s_delay_alu instid0(VALU_DEP_2) | instskip(SKIP_2) | instid1(VALU_DEP_3)
	v_dual_fmac_f32 v155, -0.5, v0 :: v_dual_sub_f32 v0, v149, v171
	v_fmamk_f32 v171, v42, 0x3f737871, v137
	v_fmac_f32_e32 v137, 0xbf737871, v42
	v_dual_add_f32 v43, v0, v1 :: v_dual_add_f32 v0, v169, v162
	v_sub_f32_e32 v1, v154, v162
	s_delay_alu instid0(VALU_DEP_4) | instskip(NEXT) | instid1(VALU_DEP_4)
	v_fmac_f32_e32 v171, 0xbf167918, v4
	v_fmac_f32_e32 v137, 0x3f167918, v4
	s_delay_alu instid0(VALU_DEP_4) | instskip(SKIP_4) | instid1(VALU_DEP_4)
	v_fmac_f32_e32 v156, -0.5, v0
	v_sub_f32_e32 v0, v150, v169
	v_fmamk_f32 v169, v190, 0x3f737871, v141
	v_fmac_f32_e32 v141, 0xbf737871, v190
	v_fmac_f32_e32 v171, 0x3e9e377a, v36
	v_dual_fmac_f32 v137, 0x3e9e377a, v36 :: v_dual_add_f32 v164, v0, v1
	v_fmamk_f32 v1, v39, 0xbf737871, v155
	v_dual_fmamk_f32 v0, v37, 0x3f737871, v156 :: v_dual_fmac_f32 v155, 0x3f737871, v39
	v_fmac_f32_e32 v156, 0xbf737871, v37
	v_add_nc_u32_e32 v39, 0x4c00, v246
	s_delay_alu instid0(VALU_DEP_4) | instskip(NEXT) | instid1(VALU_DEP_4)
	v_fmac_f32_e32 v1, 0x3f167918, v38
	v_dual_fmac_f32 v0, 0xbf167918, v35 :: v_dual_fmac_f32 v159, 0xbf167918, v24
	v_fmac_f32_e32 v155, 0xbf167918, v38
	v_fmac_f32_e32 v156, 0x3f167918, v35
	s_delay_alu instid0(VALU_DEP_3) | instskip(SKIP_3) | instid1(VALU_DEP_4)
	v_dual_fmac_f32 v1, 0x3e9e377a, v43 :: v_dual_fmac_f32 v0, 0x3e9e377a, v164
	v_fmac_f32_e32 v20, 0xbf737871, v24
	v_fmac_f32_e32 v169, 0xbf167918, v187
	;; [unrolled: 1-line block ×3, first 2 shown]
	v_mul_f32_e32 v166, 0xbf737871, v1
	v_mul_f32_e32 v165, 0x3f737871, v0
	v_fmac_f32_e32 v159, 0x3e9e377a, v8
	v_dual_fmac_f32 v155, 0x3e9e377a, v43 :: v_dual_fmac_f32 v156, 0x3e9e377a, v164
	s_delay_alu instid0(VALU_DEP_4)
	v_fmac_f32_e32 v166, 0x3e9e377a, v0
	v_add_f32_e32 v0, v146, v157
	v_fmac_f32_e32 v20, 0xbf167918, v25
	v_fmac_f32_e32 v165, 0x3e9e377a, v1
	;; [unrolled: 1-line block ×4, first 2 shown]
	v_fma_f32 v168, -0.5, v0, v136
	v_mul_f32_e32 v5, 0xbe9e377a, v159
	v_dual_mul_f32 v7, 0xbe9e377a, v155 :: v_dual_mul_f32 v8, 0xbe9e377a, v156
	v_fmac_f32_e32 v20, 0x3e9e377a, v18
	s_delay_alu instid0(VALU_DEP_4) | instskip(SKIP_3) | instid1(VALU_DEP_4)
	v_fmamk_f32 v170, v200, 0xbf737871, v168
	v_fmac_f32_e32 v168, 0x3f737871, v200
	v_dual_add_f32 v0, v167, v9 :: v_dual_add_f32 v1, v169, v10
	v_add_f32_e32 v3, v171, v166
	v_fmac_f32_e32 v170, 0x3f167918, v194
	s_delay_alu instid0(VALU_DEP_4)
	v_fmac_f32_e32 v168, 0xbf167918, v194
	v_fmac_f32_e32 v5, 0x3f737871, v160
	;; [unrolled: 1-line block ×7, first 2 shown]
	v_mul_f32_e32 v4, 0xbf4f1bbd, v20
	v_mul_f32_e32 v12, 0xbf4f1bbd, v21
	v_dual_add_f32 v2, v170, v165 :: v_dual_add_nc_u32 v35, 0x1800, v246
	s_delay_alu instid0(VALU_DEP_3) | instskip(NEXT) | instid1(VALU_DEP_3)
	v_fmac_f32_e32 v4, 0x3f167918, v21
	v_fmac_f32_e32 v12, 0xbf167918, v20
	ds_store_2addr_b64 v184, v[0:1], v[2:3] offset0:60 offset1:160
	v_dual_add_f32 v0, v140, v5 :: v_dual_add_f32 v1, v141, v6
	v_dual_add_f32 v2, v168, v7 :: v_dual_add_f32 v3, v137, v8
	ds_store_2addr_b64 v191, v[0:1], v[2:3] offset0:104 offset1:204
	v_add_f32_e32 v0, v142, v4
	v_dual_add_f32 v1, v185, v12 :: v_dual_add_f32 v2, v192, v11
	v_add_f32_e32 v3, v212, v16
	ds_store_2addr_b64 v189, v[0:1], v[2:3] offset0:20 offset1:120
	v_dual_add_f32 v2, v136, v146 :: v_dual_sub_f32 v1, v13, v15
	v_add_f32_e32 v3, v28, v148
	v_dual_add_f32 v13, v40, v149 :: v_dual_mov_b32 v40, v199
	s_delay_alu instid0(VALU_DEP_2) | instskip(NEXT) | instid1(VALU_DEP_1)
	v_dual_add_f32 v2, v2, v147 :: v_dual_add_f32 v3, v3, v152
	v_dual_add_f32 v13, v13, v153 :: v_dual_add_f32 v2, v2, v151
	s_delay_alu instid0(VALU_DEP_2) | instskip(NEXT) | instid1(VALU_DEP_2)
	v_add_f32_e32 v17, v3, v158
	v_add_f32_e32 v13, v13, v161
	s_delay_alu instid0(VALU_DEP_3) | instskip(SKIP_1) | instid1(VALU_DEP_2)
	v_dual_add_f32 v15, v2, v157 :: v_dual_sub_f32 v0, v32, v14
	v_add_f32_e32 v14, v163, v150
	v_sub_f32_e32 v2, v15, v13
	s_delay_alu instid0(VALU_DEP_2) | instskip(NEXT) | instid1(VALU_DEP_1)
	v_add_f32_e32 v14, v14, v154
	v_add_f32_e32 v14, v14, v162
	s_delay_alu instid0(VALU_DEP_1)
	v_sub_f32_e32 v3, v17, v14
	ds_store_2addr_b64 v195, v[0:1], v[2:3] offset0:64 offset1:164
	v_sub_f32_e32 v0, v144, v26
	v_sub_f32_e32 v1, v188, v27
	v_dual_sub_f32 v2, v196, v138 :: v_dual_sub_f32 v3, v41, v139
	v_mov_b32_e32 v195, v193
	ds_store_2addr_b64 v199, v[0:1], v[2:3] offset0:108 offset1:208
	v_dual_sub_f32 v0, v167, v9 :: v_dual_sub_f32 v1, v169, v10
	v_dual_sub_f32 v2, v170, v165 :: v_dual_sub_f32 v3, v171, v166
	ds_store_2addr_b64 v250, v[0:1], v[2:3] offset0:152 offset1:252
	v_sub_f32_e32 v1, v141, v6
	v_dual_sub_f32 v3, v137, v8 :: v_dual_sub_f32 v0, v140, v5
	v_sub_f32_e32 v2, v168, v7
	ds_store_2addr_b64 v39, v[0:1], v[2:3] offset0:68 offset1:168
	v_sub_f32_e32 v0, v142, v4
	v_dual_sub_f32 v1, v185, v12 :: v_dual_sub_f32 v2, v192, v11
	v_sub_f32_e32 v3, v212, v16
	ds_store_2addr_b64 v211, v[0:1], v[2:3] offset0:112 offset1:212
	v_dual_add_f32 v0, v15, v13 :: v_dual_add_f32 v1, v17, v14
	ds_store_b64 v246, v[0:1] offset:1600
	global_wb scope:SCOPE_SE
	s_wait_dscnt 0x0
	s_barrier_signal -1
	s_barrier_wait -1
	global_inv scope:SCOPE_SE
	s_clause 0x1
	global_load_b64 v[4:5], v246, s[8:9] offset:24000
	global_load_b64 v[6:7], v246, s[2:3] offset:23200
	ds_load_2addr_b64 v[0:3], v246 offset1:100
	s_wait_loadcnt_dscnt 0x100
	v_mul_f32_e32 v8, v1, v5
	v_mul_f32_e32 v9, v0, v5
	s_delay_alu instid0(VALU_DEP_2) | instskip(NEXT) | instid1(VALU_DEP_2)
	v_fma_f32 v8, v0, v4, -v8
	v_fmac_f32_e32 v9, v1, v4
	s_clause 0x2
	global_load_b64 v[0:1], v246, s[2:3] offset:800
	global_load_b64 v[4:5], v246, s[2:3] offset:3200
	;; [unrolled: 1-line block ×3, first 2 shown]
	ds_store_b64 v246, v[8:9]
	s_clause 0x3
	global_load_b64 v[8:9], v246, s[2:3] offset:4800
	global_load_b64 v[14:15], v246, s[2:3] offset:5600
	;; [unrolled: 1-line block ×4, first 2 shown]
	s_wait_loadcnt 0x6
	v_mul_f32_e32 v12, v3, v1
	v_mul_f32_e32 v13, v2, v1
	s_delay_alu instid0(VALU_DEP_2) | instskip(NEXT) | instid1(VALU_DEP_2)
	v_fma_f32 v12, v2, v0, -v12
	v_fmac_f32_e32 v13, v3, v0
	ds_load_2addr_b64 v[0:3], v33 offset0:88 offset1:188
	s_wait_loadcnt_dscnt 0x300
	v_mul_f32_e32 v20, v1, v9
	v_mul_f32_e32 v21, v0, v9
	s_wait_loadcnt 0x2
	v_mul_f32_e32 v9, v2, v15
	s_delay_alu instid0(VALU_DEP_3) | instskip(NEXT) | instid1(VALU_DEP_3)
	v_fma_f32 v20, v0, v8, -v20
	v_dual_mul_f32 v0, v3, v15 :: v_dual_fmac_f32 v21, v1, v8
	s_delay_alu instid0(VALU_DEP_3) | instskip(NEXT) | instid1(VALU_DEP_2)
	v_fmac_f32_e32 v9, v3, v14
	v_fma_f32 v8, v2, v14, -v0
	s_clause 0x1
	global_load_b64 v[14:15], v246, s[2:3] offset:9600
	global_load_b64 v[22:23], v246, s[2:3] offset:8800
	ds_load_2addr_b64 v[0:3], v247 offset0:48 offset1:148
	v_mov_b32_e32 v247, v189
	s_wait_loadcnt_dscnt 0x100
	v_mul_f32_e32 v24, v1, v15
	v_mul_f32_e32 v25, v0, v15
	s_delay_alu instid0(VALU_DEP_2) | instskip(NEXT) | instid1(VALU_DEP_2)
	v_fma_f32 v24, v0, v14, -v24
	v_fmac_f32_e32 v25, v1, v14
	s_clause 0x6
	global_load_b64 v[0:1], v246, s[2:3] offset:10400
	global_load_b64 v[14:15], v246, s[2:3] offset:12800
	;; [unrolled: 1-line block ×7, first 2 shown]
	s_wait_loadcnt 0x6
	v_mul_f32_e32 v28, v3, v1
	v_mul_f32_e32 v137, v2, v1
	s_delay_alu instid0(VALU_DEP_2) | instskip(NEXT) | instid1(VALU_DEP_2)
	v_fma_f32 v136, v2, v0, -v28
	v_fmac_f32_e32 v137, v3, v0
	ds_load_2addr_b64 v[0:3], v199 offset0:8 offset1:108
	s_wait_loadcnt_dscnt 0x300
	v_dual_mov_b32 v199, v248 :: v_dual_mul_f32 v28, v1, v139
	v_mul_f32_e32 v147, v0, v139
	s_wait_loadcnt 0x2
	v_mul_f32_e32 v139, v2, v141
	s_delay_alu instid0(VALU_DEP_3) | instskip(NEXT) | instid1(VALU_DEP_3)
	v_fma_f32 v146, v0, v138, -v28
	v_dual_mul_f32 v0, v3, v141 :: v_dual_fmac_f32 v147, v1, v138
	s_delay_alu instid0(VALU_DEP_3) | instskip(NEXT) | instid1(VALU_DEP_2)
	v_fmac_f32_e32 v139, v3, v140
	v_fma_f32 v138, v2, v140, -v0
	s_clause 0x1
	global_load_b64 v[140:141], v246, s[2:3] offset:19200
	global_load_b64 v[148:149], v246, s[2:3] offset:18400
	ds_load_2addr_b64 v[0:3], v248 offset0:96 offset1:196
	v_mov_b32_e32 v248, v245
	s_wait_loadcnt_dscnt 0x100
	v_mul_f32_e32 v28, v1, v141
	v_mul_f32_e32 v151, v0, v141
	s_delay_alu instid0(VALU_DEP_2) | instskip(NEXT) | instid1(VALU_DEP_2)
	v_fma_f32 v150, v0, v140, -v28
	v_fmac_f32_e32 v151, v1, v140
	s_clause 0x3
	global_load_b64 v[0:1], v246, s[2:3] offset:20000
	global_load_b64 v[140:141], v246, s[2:3] offset:22400
	;; [unrolled: 1-line block ×4, first 2 shown]
	s_wait_loadcnt 0x3
	v_mul_f32_e32 v28, v3, v1
	v_mul_f32_e32 v155, v2, v1
	s_delay_alu instid0(VALU_DEP_2) | instskip(NEXT) | instid1(VALU_DEP_2)
	v_fma_f32 v154, v2, v0, -v28
	v_fmac_f32_e32 v155, v3, v0
	ds_load_2addr_b64 v[0:3], v245 offset0:72 offset1:172
	s_wait_loadcnt_dscnt 0x0
	v_dual_mul_f32 v28, v3, v157 :: v_dual_add_nc_u32 v245, 0x3c00, v246
	v_mul_f32_e32 v159, v2, v157
	v_mul_f32_e32 v157, v0, v11
	s_delay_alu instid0(VALU_DEP_3) | instskip(NEXT) | instid1(VALU_DEP_3)
	v_fma_f32 v158, v2, v156, -v28
	v_dual_mul_f32 v2, v1, v11 :: v_dual_fmac_f32 v159, v3, v156
	s_delay_alu instid0(VALU_DEP_3) | instskip(NEXT) | instid1(VALU_DEP_2)
	v_fmac_f32_e32 v157, v1, v10
	v_fma_f32 v156, v0, v10, -v2
	ds_load_2addr_b64 v[0:3], v193 offset0:144 offset1:244
	s_wait_dscnt 0x0
	v_dual_mov_b32 v193, v191 :: v_dual_mul_f32 v10, v1, v5
	v_mul_f32_e32 v11, v0, v5
	v_mul_f32_e32 v5, v2, v19
	s_delay_alu instid0(VALU_DEP_3) | instskip(NEXT) | instid1(VALU_DEP_3)
	v_fma_f32 v10, v0, v4, -v10
	v_dual_mul_f32 v0, v3, v19 :: v_dual_fmac_f32 v11, v1, v4
	s_delay_alu instid0(VALU_DEP_3) | instskip(NEXT) | instid1(VALU_DEP_2)
	v_fmac_f32_e32 v5, v3, v18
	v_fma_f32 v4, v2, v18, -v0
	s_clause 0x1
	global_load_b64 v[18:19], v246, s[2:3] offset:7200
	global_load_b64 v[160:161], v246, s[2:3] offset:8000
	ds_load_2addr_b64 v[0:3], v35 offset0:32 offset1:132
	s_wait_loadcnt_dscnt 0x100
	v_mul_f32_e32 v28, v3, v19
	v_mul_f32_e32 v163, v2, v19
	;; [unrolled: 1-line block ×3, first 2 shown]
	s_delay_alu instid0(VALU_DEP_3) | instskip(NEXT) | instid1(VALU_DEP_3)
	v_fma_f32 v162, v2, v18, -v28
	v_dual_mul_f32 v2, v1, v17 :: v_dual_fmac_f32 v163, v3, v18
	s_delay_alu instid0(VALU_DEP_3) | instskip(NEXT) | instid1(VALU_DEP_2)
	v_fmac_f32_e32 v19, v1, v16
	v_fma_f32 v18, v0, v16, -v2
	ds_load_2addr_b64 v[0:3], v191 offset0:104 offset1:204
	v_mov_b32_e32 v191, v29
	s_wait_loadcnt_dscnt 0x0
	v_mul_f32_e32 v16, v1, v161
	v_mul_f32_e32 v17, v0, v161
	;; [unrolled: 1-line block ×3, first 2 shown]
	s_delay_alu instid0(VALU_DEP_3) | instskip(NEXT) | instid1(VALU_DEP_3)
	v_fma_f32 v16, v0, v160, -v16
	v_dual_mul_f32 v0, v3, v23 :: v_dual_fmac_f32 v17, v1, v160
	s_delay_alu instid0(VALU_DEP_3) | instskip(NEXT) | instid1(VALU_DEP_2)
	v_fmac_f32_e32 v161, v3, v22
	v_fma_f32 v160, v2, v22, -v0
	global_load_b64 v[22:23], v246, s[2:3] offset:12000
	ds_load_2addr_b64 v[0:3], v189 offset0:120 offset1:220
	v_mov_b32_e32 v189, v211
	s_wait_loadcnt_dscnt 0x0
	v_mul_f32_e32 v28, v3, v23
	v_mul_f32_e32 v165, v2, v23
	;; [unrolled: 1-line block ×3, first 2 shown]
	s_delay_alu instid0(VALU_DEP_3) | instskip(NEXT) | instid1(VALU_DEP_3)
	v_fma_f32 v164, v2, v22, -v28
	v_dual_mul_f32 v2, v1, v27 :: v_dual_fmac_f32 v165, v3, v22
	s_delay_alu instid0(VALU_DEP_3) | instskip(NEXT) | instid1(VALU_DEP_2)
	v_fmac_f32_e32 v23, v1, v26
	v_fma_f32 v22, v0, v26, -v2
	ds_load_2addr_b64 v[0:3], v29 offset0:64 offset1:164
	s_wait_dscnt 0x0
	v_dual_mov_b32 v29, v250 :: v_dual_mul_f32 v26, v1, v15
	v_mul_f32_e32 v27, v0, v15
	v_mul_f32_e32 v15, v2, v145
	s_delay_alu instid0(VALU_DEP_3) | instskip(NEXT) | instid1(VALU_DEP_3)
	v_fma_f32 v26, v0, v14, -v26
	v_dual_mul_f32 v0, v3, v145 :: v_dual_fmac_f32 v27, v1, v14
	s_delay_alu instid0(VALU_DEP_3) | instskip(NEXT) | instid1(VALU_DEP_2)
	v_fmac_f32_e32 v15, v3, v144
	v_fma_f32 v14, v2, v144, -v0
	s_clause 0x1
	global_load_b64 v[144:145], v246, s[2:3] offset:16800
	global_load_b64 v[166:167], v246, s[2:3] offset:17600
	ds_load_2addr_b64 v[0:3], v245 offset0:80 offset1:180
	s_wait_loadcnt_dscnt 0x100
	v_mul_f32_e32 v28, v3, v145
	v_mul_f32_e32 v169, v2, v145
	v_mul_f32_e32 v145, v0, v143
	s_delay_alu instid0(VALU_DEP_3) | instskip(NEXT) | instid1(VALU_DEP_3)
	v_fma_f32 v168, v2, v144, -v28
	v_dual_mul_f32 v2, v1, v143 :: v_dual_fmac_f32 v169, v3, v144
	s_delay_alu instid0(VALU_DEP_3) | instskip(NEXT) | instid1(VALU_DEP_2)
	v_fmac_f32_e32 v145, v1, v142
	v_fma_f32 v144, v0, v142, -v2
	ds_load_2addr_b64 v[0:3], v250 offset0:152 offset1:252
	v_add_nc_u32_e32 v250, 0x5000, v246
	s_wait_loadcnt_dscnt 0x0
	v_mul_f32_e32 v28, v1, v167
	v_mul_f32_e32 v143, v0, v167
	;; [unrolled: 1-line block ×3, first 2 shown]
	s_delay_alu instid0(VALU_DEP_3) | instskip(NEXT) | instid1(VALU_DEP_3)
	v_fma_f32 v142, v0, v166, -v28
	v_dual_mul_f32 v0, v3, v149 :: v_dual_fmac_f32 v143, v1, v166
	s_delay_alu instid0(VALU_DEP_3) | instskip(NEXT) | instid1(VALU_DEP_2)
	v_fmac_f32_e32 v167, v3, v148
	v_fma_f32 v166, v2, v148, -v0
	global_load_b64 v[148:149], v246, s[2:3] offset:21600
	ds_load_2addr_b64 v[0:3], v250 offset0:40 offset1:140
	s_mov_b32 s2, 0xc3ece2a5
	s_mov_b32 s3, 0x3f35d867
	s_wait_loadcnt_dscnt 0x0
	v_mul_f32_e32 v28, v3, v149
	v_mul_f32_e32 v171, v2, v149
	v_mul_f32_e32 v149, v0, v153
	s_delay_alu instid0(VALU_DEP_3) | instskip(NEXT) | instid1(VALU_DEP_3)
	v_fma_f32 v170, v2, v148, -v28
	v_dual_mul_f32 v2, v1, v153 :: v_dual_fmac_f32 v171, v3, v148
	s_delay_alu instid0(VALU_DEP_3) | instskip(NEXT) | instid1(VALU_DEP_2)
	v_fmac_f32_e32 v149, v1, v152
	v_fma_f32 v148, v0, v152, -v2
	ds_load_2addr_b64 v[0:3], v211 offset0:112 offset1:212
	v_mov_b32_e32 v211, v33
	s_wait_dscnt 0x0
	v_mul_f32_e32 v28, v1, v141
	v_mul_f32_e32 v153, v0, v141
	s_delay_alu instid0(VALU_DEP_2) | instskip(NEXT) | instid1(VALU_DEP_2)
	v_fma_f32 v152, v0, v140, -v28
	v_dual_mul_f32 v0, v3, v7 :: v_dual_fmac_f32 v153, v1, v140
	v_mul_f32_e32 v1, v2, v7
	s_delay_alu instid0(VALU_DEP_2) | instskip(SKIP_1) | instid1(VALU_DEP_3)
	v_fma_f32 v0, v2, v6, -v0
	v_add_nc_u32_e32 v2, 0x2c00, v246
	v_fmac_f32_e32 v1, v3, v6
	ds_store_2addr_b64 v2, v[164:165], v[26:27] offset0:92 offset1:192
	v_add_nc_u32_e32 v2, 0xc00, v246
	ds_store_2addr_b64 v2, v[4:5], v[20:21] offset0:116 offset1:216
	v_add_nc_u32_e32 v2, 0x2000, v246
	;; [unrolled: 2-line block ×4, first 2 shown]
	ds_store_2addr_b64 v2, v[166:167], v[150:151] offset0:124 offset1:224
	ds_store_2addr_b64 v195, v[158:159], v[10:11] offset0:44 offset1:144
	;; [unrolled: 1-line block ×10, first 2 shown]
	ds_store_b64 v246, v[0:1] offset:23200
	global_wb scope:SCOPE_SE
	s_wait_dscnt 0x0
	s_barrier_signal -1
	s_barrier_wait -1
	global_inv scope:SCOPE_SE
	ds_load_2addr_b64 v[156:159], v33 offset0:88 offset1:188
	ds_load_2addr_b64 v[160:163], v34 offset0:48 offset1:148
	;; [unrolled: 1-line block ×9, first 2 shown]
	ds_load_2addr_b64 v[8:11], v246 offset1:100
	v_mov_b32_e32 v16, v29
	s_wait_dscnt 0x8
	v_sub_f32_e32 v0, v156, v160
	s_wait_dscnt 0x3
	v_dual_sub_f32 v1, v164, v168 :: v_dual_sub_f32 v196, v146, v154
	s_wait_dscnt 0x2
	v_dual_sub_f32 v186, v142, v150 :: v_dual_sub_f32 v255, v143, v151
	s_delay_alu instid0(VALU_DEP_2)
	v_dual_sub_f32 v184, v147, v155 :: v_dual_add_f32 v187, v0, v1
	v_sub_f32_e32 v0, v157, v161
	v_sub_f32_e32 v1, v165, v169
	;; [unrolled: 1-line block ×6, first 2 shown]
	v_dual_add_f32 v185, v0, v1 :: v_dual_sub_f32 v0, v142, v146
	v_sub_f32_e32 v1, v150, v154
	s_delay_alu instid0(VALU_DEP_1) | instskip(SKIP_2) | instid1(VALU_DEP_1)
	v_dual_sub_f32 v3, v155, v151 :: v_dual_add_f32 v190, v0, v1
	v_sub_f32_e32 v0, v143, v147
	v_sub_f32_e32 v1, v151, v155
	v_add_f32_e32 v212, v0, v1
	v_add_f32_e32 v0, v147, v155
	s_wait_dscnt 0x1
	s_delay_alu instid0(VALU_DEP_1) | instskip(SKIP_1) | instid1(VALU_DEP_1)
	v_fma_f32 v200, -0.5, v0, v139
	v_add_f32_e32 v0, v146, v154
	v_fma_f32 v194, -0.5, v0, v138
	s_delay_alu instid0(VALU_DEP_3) | instskip(SKIP_1) | instid1(VALU_DEP_3)
	v_fmamk_f32 v0, v186, 0x3f737871, v200
	v_fmac_f32_e32 v200, 0xbf737871, v186
	v_fmamk_f32 v1, v255, 0xbf737871, v194
	s_delay_alu instid0(VALU_DEP_3) | instskip(SKIP_1) | instid1(VALU_DEP_4)
	v_fmac_f32_e32 v0, 0x3f167918, v196
	v_fmac_f32_e32 v194, 0x3f737871, v255
	;; [unrolled: 1-line block ×3, first 2 shown]
	s_delay_alu instid0(VALU_DEP_4) | instskip(NEXT) | instid1(VALU_DEP_4)
	v_fmac_f32_e32 v1, 0xbf167918, v184
	v_fmac_f32_e32 v0, 0x3e9e377a, v212
	s_delay_alu instid0(VALU_DEP_4) | instskip(NEXT) | instid1(VALU_DEP_3)
	v_fmac_f32_e32 v194, 0x3f167918, v184
	v_dual_fmac_f32 v200, 0x3e9e377a, v212 :: v_dual_fmac_f32 v1, 0x3e9e377a, v190
	s_delay_alu instid0(VALU_DEP_3) | instskip(NEXT) | instid1(VALU_DEP_3)
	v_mul_f32_e32 v192, 0xbf167918, v0
	v_fmac_f32_e32 v194, 0x3e9e377a, v190
	s_delay_alu instid0(VALU_DEP_3) | instskip(NEXT) | instid1(VALU_DEP_3)
	v_mul_f32_e32 v188, 0x3f167918, v1
	v_dual_fmac_f32 v192, 0x3f4f1bbd, v1 :: v_dual_sub_f32 v1, v168, v164
	s_delay_alu instid0(VALU_DEP_2) | instskip(SKIP_1) | instid1(VALU_DEP_1)
	v_fmac_f32_e32 v188, 0x3f4f1bbd, v0
	v_sub_f32_e32 v0, v160, v156
	v_add_f32_e32 v0, v0, v1
	v_add_f32_e32 v1, v156, v164
	s_wait_dscnt 0x0
	s_delay_alu instid0(VALU_DEP_1) | instskip(SKIP_1) | instid1(VALU_DEP_2)
	v_fma_f32 v28, -0.5, v1, v8
	v_sub_f32_e32 v1, v169, v165
	v_fmamk_f32 v30, v29, 0x3f737871, v28
	v_fmac_f32_e32 v28, 0xbf737871, v29
	s_delay_alu instid0(VALU_DEP_2) | instskip(NEXT) | instid1(VALU_DEP_2)
	v_fmac_f32_e32 v30, 0xbf167918, v31
	v_fmac_f32_e32 v28, 0x3f167918, v31
	s_delay_alu instid0(VALU_DEP_2) | instskip(NEXT) | instid1(VALU_DEP_2)
	v_fmac_f32_e32 v30, 0x3e9e377a, v0
	v_fmac_f32_e32 v28, 0x3e9e377a, v0
	v_sub_f32_e32 v0, v161, v157
	s_delay_alu instid0(VALU_DEP_1) | instskip(SKIP_1) | instid1(VALU_DEP_1)
	v_add_f32_e32 v0, v0, v1
	v_add_f32_e32 v1, v157, v165
	v_fma_f32 v32, -0.5, v1, v9
	s_delay_alu instid0(VALU_DEP_1) | instskip(SKIP_1) | instid1(VALU_DEP_2)
	v_dual_sub_f32 v1, v154, v150 :: v_dual_fmamk_f32 v34, v33, 0xbf737871, v32
	v_fmac_f32_e32 v32, 0x3f737871, v33
	v_fmac_f32_e32 v34, 0x3f167918, v35
	s_delay_alu instid0(VALU_DEP_2) | instskip(NEXT) | instid1(VALU_DEP_2)
	v_fmac_f32_e32 v32, 0xbf167918, v35
	v_fmac_f32_e32 v34, 0x3e9e377a, v0
	s_delay_alu instid0(VALU_DEP_2) | instskip(SKIP_1) | instid1(VALU_DEP_1)
	v_fmac_f32_e32 v32, 0x3e9e377a, v0
	v_sub_f32_e32 v0, v146, v142
	v_dual_add_f32 v0, v0, v1 :: v_dual_add_f32 v1, v142, v150
	s_delay_alu instid0(VALU_DEP_1) | instskip(NEXT) | instid1(VALU_DEP_1)
	v_fma_f32 v1, -0.5, v1, v138
	v_fmamk_f32 v2, v184, 0x3f737871, v1
	v_fmac_f32_e32 v1, 0xbf737871, v184
	s_delay_alu instid0(VALU_DEP_2) | instskip(NEXT) | instid1(VALU_DEP_2)
	v_fmac_f32_e32 v2, 0xbf167918, v255
	v_fmac_f32_e32 v1, 0x3f167918, v255
	s_delay_alu instid0(VALU_DEP_2) | instskip(NEXT) | instid1(VALU_DEP_2)
	v_fmac_f32_e32 v2, 0x3e9e377a, v0
	v_dual_fmac_f32 v1, 0x3e9e377a, v0 :: v_dual_sub_f32 v0, v147, v143
	s_delay_alu instid0(VALU_DEP_1) | instskip(SKIP_1) | instid1(VALU_DEP_1)
	v_add_f32_e32 v0, v0, v3
	v_add_f32_e32 v3, v143, v151
	v_fma_f32 v3, -0.5, v3, v139
	s_delay_alu instid0(VALU_DEP_1) | instskip(SKIP_1) | instid1(VALU_DEP_2)
	v_fmamk_f32 v4, v196, 0xbf737871, v3
	v_fmac_f32_e32 v3, 0x3f737871, v196
	v_fmac_f32_e32 v4, 0x3f167918, v186
	s_delay_alu instid0(VALU_DEP_2) | instskip(NEXT) | instid1(VALU_DEP_2)
	v_fmac_f32_e32 v3, 0xbf167918, v186
	v_fmac_f32_e32 v4, 0x3e9e377a, v0
	s_delay_alu instid0(VALU_DEP_2) | instskip(NEXT) | instid1(VALU_DEP_2)
	v_fmac_f32_e32 v3, 0x3e9e377a, v0
	v_mul_f32_e32 v36, 0xbf737871, v4
	v_mul_f32_e32 v37, 0x3e9e377a, v4
	ds_load_2addr_b64 v[24:27], v195 offset0:144 offset1:244
	ds_load_2addr_b64 v[12:15], v193 offset0:104 offset1:204
	;; [unrolled: 1-line block ×3, first 2 shown]
	v_add_f32_e32 v0, v8, v156
	v_mul_f32_e32 v38, 0xbf737871, v3
	v_mul_f32_e32 v39, 0xbe9e377a, v3
	v_dual_add_f32 v3, v161, v169 :: v_dual_fmac_f32 v36, 0x3e9e377a, v2
	s_delay_alu instid0(VALU_DEP_4) | instskip(NEXT) | instid1(VALU_DEP_4)
	v_dual_add_f32 v0, v0, v160 :: v_dual_fmac_f32 v37, 0x3f737871, v2
	v_fmac_f32_e32 v38, 0xbe9e377a, v1
	s_delay_alu instid0(VALU_DEP_4) | instskip(NEXT) | instid1(VALU_DEP_3)
	v_fmac_f32_e32 v39, 0x3f737871, v1
	v_dual_add_f32 v1, v138, v142 :: v_dual_add_f32 v0, v0, v168
	s_delay_alu instid0(VALU_DEP_1) | instskip(NEXT) | instid1(VALU_DEP_2)
	v_dual_add_f32 v2, v139, v143 :: v_dual_add_f32 v1, v1, v146
	v_add_f32_e32 v40, v0, v164
	v_add_f32_e32 v0, v160, v168
	s_delay_alu instid0(VALU_DEP_3) | instskip(NEXT) | instid1(VALU_DEP_2)
	v_dual_add_f32 v2, v2, v147 :: v_dual_add_f32 v1, v1, v154
	v_fma_f32 v8, -0.5, v0, v8
	v_add_f32_e32 v0, v9, v157
	v_fma_f32 v9, -0.5, v3, v9
	s_delay_alu instid0(VALU_DEP_4) | instskip(NEXT) | instid1(VALU_DEP_3)
	v_dual_add_f32 v2, v2, v155 :: v_dual_add_f32 v43, v1, v150
	v_dual_fmamk_f32 v41, v31, 0xbf737871, v8 :: v_dual_add_f32 v0, v0, v161
	v_mov_b32_e32 v161, v16
	ds_load_2addr_b64 v[16:19], v16 offset0:152 offset1:252
	ds_load_2addr_b64 v[20:23], v189 offset0:112 offset1:212
	v_fmamk_f32 v42, v35, 0x3f737871, v9
	v_fmac_f32_e32 v41, 0xbf167918, v29
	v_dual_add_f32 v0, v0, v169 :: v_dual_add_f32 v139, v2, v151
	v_add_f32_e32 v154, v40, v43
	s_delay_alu instid0(VALU_DEP_4) | instskip(NEXT) | instid1(VALU_DEP_3)
	v_fmac_f32_e32 v42, 0x3f167918, v33
	v_dual_fmac_f32 v41, 0x3e9e377a, v187 :: v_dual_add_f32 v138, v0, v165
	v_fmac_f32_e32 v8, 0x3f737871, v31
	v_fmac_f32_e32 v9, 0xbf737871, v35
	s_delay_alu instid0(VALU_DEP_4) | instskip(NEXT) | instid1(VALU_DEP_4)
	v_fmac_f32_e32 v42, 0x3e9e377a, v185
	v_dual_add_f32 v156, v41, v192 :: v_dual_add_f32 v155, v138, v139
	v_add_f32_e32 v0, v30, v36
	s_delay_alu instid0(VALU_DEP_3)
	v_dual_add_f32 v2, v28, v38 :: v_dual_add_f32 v157, v42, v188
	v_add_f32_e32 v1, v34, v37
	v_add_f32_e32 v3, v32, v39
	global_wb scope:SCOPE_SE
	s_wait_dscnt 0x0
	s_barrier_signal -1
	s_barrier_wait -1
	global_inv scope:SCOPE_SE
	ds_store_b128 v230, v[154:157]
	ds_store_b128 v230, v[0:3] offset:16
	v_sub_f32_e32 v156, v30, v36
	v_fmac_f32_e32 v8, 0x3f167918, v29
	v_fmac_f32_e32 v9, 0xbf167918, v33
	v_mul_f32_e32 v29, 0xbf167918, v200
	v_mul_f32_e32 v30, 0xbf4f1bbd, v200
	v_sub_f32_e32 v2, v40, v43
	s_delay_alu instid0(VALU_DEP_4) | instskip(NEXT) | instid1(VALU_DEP_4)
	v_dual_fmac_f32 v8, 0x3e9e377a, v187 :: v_dual_fmac_f32 v9, 0x3e9e377a, v185
	v_fmac_f32_e32 v29, 0xbf4f1bbd, v194
	s_delay_alu instid0(VALU_DEP_4) | instskip(SKIP_1) | instid1(VALU_DEP_3)
	v_dual_fmac_f32 v30, 0x3f167918, v194 :: v_dual_sub_f32 v3, v138, v139
	v_sub_f32_e32 v154, v41, v192
	v_dual_sub_f32 v155, v42, v188 :: v_dual_add_f32 v0, v8, v29
	s_delay_alu instid0(VALU_DEP_3)
	v_add_f32_e32 v1, v9, v30
	v_sub_f32_e32 v157, v34, v37
	ds_store_b128 v230, v[0:3] offset:32
	ds_store_b128 v230, v[154:157] offset:48
	v_sub_f32_e32 v0, v28, v38
	v_sub_f32_e32 v2, v8, v29
	;; [unrolled: 1-line block ×3, first 2 shown]
	v_dual_sub_f32 v3, v9, v30 :: v_dual_sub_f32 v30, v159, v163
	v_dual_sub_f32 v38, v167, v171 :: v_dual_sub_f32 v143, v13, v21
	v_sub_f32_e32 v139, v12, v20
	ds_store_b128 v230, v[0:3] offset:64
	v_dual_add_f32 v0, v10, v158 :: v_dual_add_f32 v1, v11, v159
	v_add_f32_e32 v30, v30, v38
	v_sub_f32_e32 v146, v5, v17
	v_sub_f32_e32 v142, v4, v16
	s_delay_alu instid0(VALU_DEP_4) | instskip(SKIP_2) | instid1(VALU_DEP_3)
	v_dual_add_f32 v0, v0, v162 :: v_dual_add_f32 v1, v1, v163
	v_dual_sub_f32 v9, v162, v158 :: v_dual_add_f32 v28, v163, v171
	v_add_f32_e32 v33, v158, v166
	v_dual_add_f32 v0, v0, v170 :: v_dual_add_f32 v1, v1, v171
	v_dual_sub_f32 v37, v170, v166 :: v_dual_sub_f32 v8, v163, v171
	v_sub_f32_e32 v32, v159, v167
	s_delay_alu instid0(VALU_DEP_3)
	v_dual_add_f32 v40, v0, v166 :: v_dual_add_f32 v41, v1, v167
	v_sub_f32_e32 v0, v12, v4
	v_sub_f32_e32 v1, v20, v16
	v_add_f32_e32 v35, v159, v167
	v_sub_f32_e32 v29, v162, v170
	v_sub_f32_e32 v31, v163, v159
	s_delay_alu instid0(VALU_DEP_4) | instskip(SKIP_4) | instid1(VALU_DEP_3)
	v_dual_sub_f32 v39, v171, v167 :: v_dual_add_f32 v38, v0, v1
	v_sub_f32_e32 v0, v13, v5
	v_dual_sub_f32 v1, v21, v17 :: v_dual_sub_f32 v34, v158, v166
	v_sub_f32_e32 v3, v158, v162
	v_sub_f32_e32 v36, v166, v170
	v_dual_add_f32 v42, v0, v1 :: v_dual_add_nc_u32 v159, 0x2400, v246
	v_add_f32_e32 v0, v5, v17
	v_add_f32_e32 v2, v162, v170
	s_delay_alu instid0(VALU_DEP_4) | instskip(NEXT) | instid1(VALU_DEP_3)
	v_add_f32_e32 v36, v3, v36
	v_fma_f32 v43, -0.5, v0, v25
	v_add_f32_e32 v0, v4, v16
	s_delay_alu instid0(VALU_DEP_1) | instskip(NEXT) | instid1(VALU_DEP_3)
	v_fma_f32 v138, -0.5, v0, v24
	v_fmamk_f32 v0, v139, 0x3f737871, v43
	v_fmac_f32_e32 v43, 0xbf737871, v139
	s_delay_alu instid0(VALU_DEP_3) | instskip(NEXT) | instid1(VALU_DEP_3)
	v_fmamk_f32 v1, v143, 0xbf737871, v138
	v_fmac_f32_e32 v0, 0x3f167918, v142
	v_fmac_f32_e32 v138, 0x3f737871, v143
	s_delay_alu instid0(VALU_DEP_4) | instskip(NEXT) | instid1(VALU_DEP_4)
	v_fmac_f32_e32 v43, 0xbf167918, v142
	v_fmac_f32_e32 v1, 0xbf167918, v146
	s_delay_alu instid0(VALU_DEP_4) | instskip(NEXT) | instid1(VALU_DEP_4)
	;; [unrolled: 3-line block ×4, first 2 shown]
	v_mul_f32_e32 v147, 0xbf167918, v0
	v_fmac_f32_e32 v138, 0x3e9e377a, v38
	v_sub_f32_e32 v38, v22, v18
	s_delay_alu instid0(VALU_DEP_4) | instskip(NEXT) | instid1(VALU_DEP_4)
	v_mul_f32_e32 v150, 0x3f167918, v1
	v_fmac_f32_e32 v147, 0x3f4f1bbd, v1
	v_sub_f32_e32 v1, v16, v20
	s_delay_alu instid0(VALU_DEP_3)
	v_fmac_f32_e32 v150, 0x3f4f1bbd, v0
	v_add_f32_e32 v0, v9, v37
	v_fma_f32 v9, -0.5, v28, v11
	v_fma_f32 v28, -0.5, v33, v10
	v_fmac_f32_e32 v11, -0.5, v35
	v_sub_f32_e32 v35, v17, v21
	v_fma_f32 v10, -0.5, v2, v10
	s_delay_alu instid0(VALU_DEP_4) | instskip(SKIP_1) | instid1(VALU_DEP_2)
	v_fmamk_f32 v33, v8, 0x3f737871, v28
	v_fmac_f32_e32 v28, 0xbf737871, v8
	v_fmac_f32_e32 v33, 0xbf167918, v32
	s_delay_alu instid0(VALU_DEP_2) | instskip(NEXT) | instid1(VALU_DEP_2)
	v_fmac_f32_e32 v28, 0x3f167918, v32
	v_fmac_f32_e32 v33, 0x3e9e377a, v0
	s_delay_alu instid0(VALU_DEP_2) | instskip(SKIP_2) | instid1(VALU_DEP_2)
	v_fmac_f32_e32 v28, 0x3e9e377a, v0
	v_dual_add_f32 v0, v31, v39 :: v_dual_fmamk_f32 v31, v29, 0xbf737871, v11
	v_fmac_f32_e32 v11, 0x3f737871, v29
	v_fmac_f32_e32 v31, 0x3f167918, v34
	s_delay_alu instid0(VALU_DEP_2) | instskip(NEXT) | instid1(VALU_DEP_2)
	v_fmac_f32_e32 v11, 0xbf167918, v34
	v_fmac_f32_e32 v31, 0x3e9e377a, v0
	s_delay_alu instid0(VALU_DEP_2) | instskip(SKIP_1) | instid1(VALU_DEP_1)
	v_fmac_f32_e32 v11, 0x3e9e377a, v0
	v_sub_f32_e32 v0, v4, v12
	v_add_f32_e32 v0, v0, v1
	v_add_f32_e32 v1, v12, v20
	s_delay_alu instid0(VALU_DEP_1) | instskip(NEXT) | instid1(VALU_DEP_1)
	v_fma_f32 v1, -0.5, v1, v24
	v_fmamk_f32 v3, v146, 0x3f737871, v1
	v_fmac_f32_e32 v1, 0xbf737871, v146
	s_delay_alu instid0(VALU_DEP_2) | instskip(NEXT) | instid1(VALU_DEP_2)
	v_fmac_f32_e32 v3, 0xbf167918, v143
	v_fmac_f32_e32 v1, 0x3f167918, v143
	s_delay_alu instid0(VALU_DEP_2) | instskip(NEXT) | instid1(VALU_DEP_2)
	v_fmac_f32_e32 v3, 0x3e9e377a, v0
	v_dual_fmac_f32 v1, 0x3e9e377a, v0 :: v_dual_sub_f32 v0, v5, v13
	s_delay_alu instid0(VALU_DEP_1) | instskip(NEXT) | instid1(VALU_DEP_1)
	v_dual_add_f32 v0, v0, v35 :: v_dual_add_f32 v35, v13, v21
	v_fma_f32 v35, -0.5, v35, v25
	s_delay_alu instid0(VALU_DEP_1) | instskip(SKIP_1) | instid1(VALU_DEP_2)
	v_fmamk_f32 v37, v142, 0xbf737871, v35
	v_fmac_f32_e32 v35, 0x3f737871, v142
	v_fmac_f32_e32 v37, 0x3f167918, v139
	s_delay_alu instid0(VALU_DEP_2) | instskip(NEXT) | instid1(VALU_DEP_2)
	v_fmac_f32_e32 v35, 0xbf167918, v139
	v_fmac_f32_e32 v37, 0x3e9e377a, v0
	s_delay_alu instid0(VALU_DEP_2) | instskip(SKIP_2) | instid1(VALU_DEP_4)
	v_fmac_f32_e32 v35, 0x3e9e377a, v0
	v_add_f32_e32 v0, v24, v12
	v_sub_f32_e32 v24, v149, v153
	v_mul_f32_e32 v39, 0xbf737871, v37
	s_delay_alu instid0(VALU_DEP_4) | instskip(NEXT) | instid1(VALU_DEP_4)
	v_mul_f32_e32 v151, 0xbf737871, v35
	v_dual_mul_f32 v35, 0xbe9e377a, v35 :: v_dual_add_f32 v0, v0, v4
	v_fmamk_f32 v4, v32, 0xbf737871, v10
	v_mul_f32_e32 v37, 0x3e9e377a, v37
	s_delay_alu instid0(VALU_DEP_4) | instskip(NEXT) | instid1(VALU_DEP_4)
	v_fmac_f32_e32 v151, 0xbe9e377a, v1
	v_fmac_f32_e32 v35, 0x3f737871, v1
	s_delay_alu instid0(VALU_DEP_4) | instskip(SKIP_2) | instid1(VALU_DEP_3)
	v_dual_add_f32 v1, v25, v13 :: v_dual_fmac_f32 v4, 0xbf167918, v8
	v_dual_add_f32 v0, v0, v16 :: v_dual_fmac_f32 v39, 0x3e9e377a, v3
	v_fmac_f32_e32 v37, 0x3f737871, v3
	v_add_f32_e32 v1, v1, v5
	s_delay_alu instid0(VALU_DEP_3) | instskip(SKIP_1) | instid1(VALU_DEP_3)
	v_dual_fmamk_f32 v5, v34, 0x3f737871, v9 :: v_dual_add_f32 v12, v0, v20
	v_fmac_f32_e32 v4, 0x3e9e377a, v36
	v_dual_fmac_f32 v10, 0x3f737871, v32 :: v_dual_add_f32 v1, v1, v17
	s_delay_alu instid0(VALU_DEP_3) | instskip(NEXT) | instid1(VALU_DEP_3)
	v_dual_fmac_f32 v5, 0x3f167918, v29 :: v_dual_add_f32 v0, v40, v12
	v_dual_add_f32 v2, v4, v147 :: v_dual_fmac_f32 v9, 0xbf737871, v34
	s_delay_alu instid0(VALU_DEP_3) | instskip(NEXT) | instid1(VALU_DEP_3)
	v_add_f32_e32 v13, v1, v21
	v_dual_fmac_f32 v5, 0x3e9e377a, v30 :: v_dual_add_f32 v154, v33, v39
	v_dual_add_f32 v156, v28, v151 :: v_dual_add_f32 v155, v31, v37
	s_delay_alu instid0(VALU_DEP_3) | instskip(NEXT) | instid1(VALU_DEP_3)
	v_add_f32_e32 v1, v41, v13
	v_add_f32_e32 v3, v5, v150
	;; [unrolled: 1-line block ×3, first 2 shown]
	ds_store_b128 v232, v[0:3]
	ds_store_b128 v232, v[154:157] offset:16
	v_dual_sub_f32 v154, v4, v147 :: v_dual_sub_f32 v155, v5, v150
	v_fmac_f32_e32 v10, 0x3f167918, v8
	v_dual_fmac_f32 v9, 0xbf167918, v29 :: v_dual_mul_f32 v4, 0xbf167918, v43
	v_dual_mul_f32 v5, 0xbf4f1bbd, v43 :: v_dual_sub_f32 v2, v40, v12
	s_delay_alu instid0(VALU_DEP_2) | instskip(NEXT) | instid1(VALU_DEP_3)
	v_dual_fmac_f32 v10, 0x3e9e377a, v36 :: v_dual_fmac_f32 v9, 0x3e9e377a, v30
	v_fmac_f32_e32 v4, 0xbf4f1bbd, v138
	s_delay_alu instid0(VALU_DEP_3) | instskip(SKIP_2) | instid1(VALU_DEP_3)
	v_fmac_f32_e32 v5, 0x3f167918, v138
	v_sub_f32_e32 v3, v41, v13
	v_dual_sub_f32 v156, v33, v39 :: v_dual_sub_f32 v157, v31, v37
	v_dual_add_f32 v0, v10, v4 :: v_dual_add_f32 v1, v9, v5
	ds_store_b128 v232, v[0:3] offset:32
	ds_store_b128 v232, v[154:157] offset:48
	v_sub_f32_e32 v1, v11, v35
	v_sub_f32_e32 v0, v28, v151
	v_dual_sub_f32 v2, v10, v4 :: v_dual_sub_f32 v3, v9, v5
	v_dual_add_f32 v30, v6, v18 :: v_dual_sub_f32 v31, v7, v19
	v_sub_f32_e32 v32, v14, v6
	v_sub_f32_e32 v33, v6, v14
	ds_store_b128 v232, v[0:3] offset:64
	v_dual_add_f32 v0, v136, v140 :: v_dual_add_f32 v1, v137, v141
	v_dual_add_f32 v34, v7, v19 :: v_dual_sub_f32 v35, v6, v18
	v_sub_f32_e32 v36, v15, v23
	s_delay_alu instid0(VALU_DEP_3) | instskip(NEXT) | instid1(VALU_DEP_3)
	v_dual_add_f32 v0, v0, v144 :: v_dual_add_f32 v1, v1, v145
	v_fma_f32 v34, -0.5, v34, v27
	v_add_f32_e32 v37, v14, v22
	s_delay_alu instid0(VALU_DEP_3) | instskip(NEXT) | instid1(VALU_DEP_4)
	v_dual_sub_f32 v39, v23, v19 :: v_dual_add_f32 v0, v0, v152
	v_add_f32_e32 v1, v1, v153
	v_dual_sub_f32 v3, v140, v144 :: v_dual_sub_f32 v10, v141, v145
	v_sub_f32_e32 v20, v148, v152
	s_delay_alu instid0(VALU_DEP_3) | instskip(SKIP_2) | instid1(VALU_DEP_4)
	v_dual_add_f32 v28, v0, v148 :: v_dual_add_f32 v29, v1, v149
	v_dual_add_f32 v0, v26, v14 :: v_dual_add_f32 v1, v27, v15
	v_sub_f32_e32 v14, v14, v22
	v_add_f32_e32 v20, v3, v20
	v_add_f32_e32 v10, v10, v24
	s_delay_alu instid0(VALU_DEP_4) | instskip(SKIP_2) | instid1(VALU_DEP_3)
	v_dual_add_f32 v0, v0, v6 :: v_dual_add_f32 v1, v1, v7
	v_sub_f32_e32 v6, v15, v7
	v_sub_f32_e32 v7, v7, v15
	v_dual_add_f32 v15, v15, v23 :: v_dual_add_f32 v0, v0, v18
	s_delay_alu instid0(VALU_DEP_4) | instskip(SKIP_1) | instid1(VALU_DEP_3)
	v_add_f32_e32 v1, v1, v19
	v_dual_sub_f32 v19, v19, v23 :: v_dual_sub_f32 v18, v18, v22
	v_dual_fmac_f32 v27, -0.5, v15 :: v_dual_add_f32 v22, v0, v22
	s_delay_alu instid0(VALU_DEP_3) | instskip(NEXT) | instid1(VALU_DEP_3)
	v_add_f32_e32 v23, v1, v23
	v_add_f32_e32 v0, v7, v19
	v_fma_f32 v15, -0.5, v30, v26
	s_delay_alu instid0(VALU_DEP_4) | instskip(SKIP_4) | instid1(VALU_DEP_4)
	v_fmamk_f32 v1, v35, 0xbf737871, v27
	v_fmac_f32_e32 v27, 0x3f737871, v35
	v_fma_f32 v7, -0.5, v37, v26
	v_dual_add_f32 v24, v32, v38 :: v_dual_fmamk_f32 v3, v14, 0x3f737871, v34
	v_add_f32_e32 v13, v140, v148
	v_dual_fmac_f32 v27, 0xbf167918, v14 :: v_dual_sub_f32 v8, v145, v153
	s_delay_alu instid0(VALU_DEP_3) | instskip(SKIP_1) | instid1(VALU_DEP_3)
	v_dual_sub_f32 v4, v144, v140 :: v_dual_fmac_f32 v3, 0x3f167918, v35
	v_add_f32_e32 v5, v145, v153
	v_fmac_f32_e32 v27, 0x3e9e377a, v0
	v_add_f32_e32 v17, v141, v149
	v_sub_f32_e32 v21, v152, v148
	v_fma_f32 v13, -0.5, v13, v136
	s_delay_alu instid0(VALU_DEP_4)
	v_dual_sub_f32 v12, v141, v149 :: v_dual_mul_f32 v19, 0xbf737871, v27
	v_mul_f32_e32 v26, 0xbe9e377a, v27
	v_dual_add_f32 v27, v6, v39 :: v_dual_fmamk_f32 v6, v36, 0xbf737871, v15
	v_sub_f32_e32 v9, v144, v152
	v_sub_f32_e32 v11, v145, v141
	;; [unrolled: 1-line block ×3, first 2 shown]
	s_delay_alu instid0(VALU_DEP_4) | instskip(SKIP_3) | instid1(VALU_DEP_4)
	v_fmac_f32_e32 v3, 0x3e9e377a, v27
	v_fmac_f32_e32 v6, 0xbf167918, v31
	v_sub_f32_e32 v16, v140, v148
	v_dual_add_f32 v2, v144, v152 :: v_dual_fmac_f32 v1, 0x3f167918, v14
	v_mul_f32_e32 v30, 0xbf167918, v3
	s_delay_alu instid0(VALU_DEP_4)
	v_fmac_f32_e32 v6, 0x3e9e377a, v24
	v_fmac_f32_e32 v34, 0xbf737871, v14
	;; [unrolled: 1-line block ×4, first 2 shown]
	v_fmamk_f32 v0, v31, 0x3f737871, v7
	v_mul_f32_e32 v32, 0x3f167918, v6
	v_fmac_f32_e32 v7, 0xbf737871, v31
	v_fmac_f32_e32 v34, 0xbf167918, v35
	;; [unrolled: 1-line block ×4, first 2 shown]
	v_dual_fmac_f32 v32, 0x3f4f1bbd, v3 :: v_dual_add_f32 v3, v4, v21
	v_fma_f32 v21, -0.5, v5, v137
	v_fmac_f32_e32 v137, -0.5, v17
	v_fmamk_f32 v17, v8, 0x3f737871, v13
	v_fmac_f32_e32 v13, 0xbf737871, v8
	v_fmac_f32_e32 v7, 0x3f167918, v36
	v_fmamk_f32 v38, v16, 0x3f737871, v21
	v_fmac_f32_e32 v21, 0xbf737871, v16
	v_fmac_f32_e32 v17, 0xbf167918, v12
	;; [unrolled: 1-line block ×8, first 2 shown]
	v_add_f32_e32 v3, v11, v25
	v_fmamk_f32 v11, v9, 0xbf737871, v137
	v_fmac_f32_e32 v137, 0x3f737871, v9
	v_dual_mul_f32 v25, 0x3e9e377a, v1 :: v_dual_fmac_f32 v38, 0x3e9e377a, v10
	v_fmac_f32_e32 v21, 0xbf167918, v9
	s_delay_alu instid0(VALU_DEP_4) | instskip(NEXT) | instid1(VALU_DEP_4)
	v_fmac_f32_e32 v11, 0x3f167918, v16
	v_fmac_f32_e32 v137, 0xbf167918, v16
	;; [unrolled: 1-line block ×3, first 2 shown]
	v_mul_f32_e32 v9, 0xbf4f1bbd, v34
	v_fmac_f32_e32 v21, 0x3e9e377a, v10
	v_fmac_f32_e32 v11, 0x3e9e377a, v3
	;; [unrolled: 1-line block ×3, first 2 shown]
	v_add_f32_e32 v3, v33, v18
	v_fma_f32 v33, -0.5, v2, v136
	v_dual_mul_f32 v18, 0xbf737871, v1 :: v_dual_add_f32 v1, v29, v23
	v_fmac_f32_e32 v9, 0x3f167918, v15
	s_delay_alu instid0(VALU_DEP_4) | instskip(NEXT) | instid1(VALU_DEP_4)
	v_fmac_f32_e32 v0, 0x3e9e377a, v3
	v_fmamk_f32 v37, v12, 0xbf737871, v33
	v_fmac_f32_e32 v33, 0x3f737871, v12
	v_fmac_f32_e32 v7, 0x3e9e377a, v3
	v_add_f32_e32 v3, v38, v32
	v_fmac_f32_e32 v18, 0x3e9e377a, v0
	v_fmac_f32_e32 v37, 0xbf167918, v8
	;; [unrolled: 1-line block ×3, first 2 shown]
	v_mul_f32_e32 v8, 0xbf167918, v34
	v_fmac_f32_e32 v25, 0x3f737871, v0
	v_fmac_f32_e32 v19, 0xbe9e377a, v7
	;; [unrolled: 1-line block ×4, first 2 shown]
	v_dual_add_f32 v0, v28, v22 :: v_dual_fmac_f32 v33, 0x3e9e377a, v20
	v_fmac_f32_e32 v8, 0xbf4f1bbd, v15
	s_delay_alu instid0(VALU_DEP_4)
	v_add_f32_e32 v2, v37, v30
	v_add_f32_e32 v4, v17, v18
	v_dual_add_f32 v6, v13, v19 :: v_dual_add_f32 v5, v11, v25
	v_add_f32_e32 v7, v137, v26
	ds_store_b128 v249, v[0:3]
	ds_store_b128 v249, v[4:7] offset:16
	v_dual_sub_f32 v2, v28, v22 :: v_dual_sub_f32 v3, v29, v23
	v_add_f32_e32 v0, v33, v8
	v_add_f32_e32 v1, v21, v9
	v_sub_f32_e32 v4, v37, v30
	v_dual_sub_f32 v6, v17, v18 :: v_dual_sub_f32 v5, v38, v32
	v_sub_f32_e32 v7, v11, v25
	ds_store_b128 v249, v[0:3] offset:32
	ds_store_b128 v249, v[4:7] offset:48
	v_sub_f32_e32 v1, v137, v26
	v_sub_f32_e32 v0, v13, v19
	;; [unrolled: 1-line block ×4, first 2 shown]
	v_mov_b32_e32 v156, v161
	v_mov_b32_e32 v232, v250
	ds_store_b128 v249, v[0:3] offset:64
	global_wb scope:SCOPE_SE
	s_wait_dscnt 0x0
	s_barrier_signal -1
	s_barrier_wait -1
	global_inv scope:SCOPE_SE
	ds_load_2addr_b64 v[0:3], v193 offset0:104 offset1:204
	ds_load_2addr_b64 v[4:7], v245 offset0:80 offset1:180
	s_wait_dscnt 0x1
	v_mul_f32_e32 v8, v226, v1
	v_mul_f32_e32 v24, v234, v3
	s_wait_dscnt 0x0
	v_mul_f32_e32 v10, v228, v5
	v_mul_f32_e32 v26, v236, v7
	v_fmac_f32_e32 v8, v225, v0
	v_mul_f32_e32 v0, v226, v0
	v_fmac_f32_e32 v24, v233, v2
	v_fmac_f32_e32 v10, v227, v4
	;; [unrolled: 1-line block ×3, first 2 shown]
	s_delay_alu instid0(VALU_DEP_4) | instskip(SKIP_1) | instid1(VALU_DEP_4)
	v_fma_f32 v9, v225, v1, -v0
	v_mul_f32_e32 v0, v228, v4
	v_sub_f32_e32 v153, v8, v10
	s_delay_alu instid0(VALU_DEP_2) | instskip(SKIP_1) | instid1(VALU_DEP_2)
	v_fma_f32 v11, v227, v5, -v0
	v_mul_f32_e32 v0, v234, v2
	v_sub_f32_e32 v152, v9, v11
	s_delay_alu instid0(VALU_DEP_2) | instskip(SKIP_1) | instid1(VALU_DEP_1)
	v_fma_f32 v25, v233, v3, -v0
	v_mul_f32_e32 v0, v236, v6
	v_fma_f32 v27, v235, v7, -v0
	ds_load_2addr_b64 v[0:3], v159 offset0:48 offset1:148
	ds_load_2addr_b64 v[4:7], v161 offset0:152 offset1:252
	s_wait_dscnt 0x1
	v_dual_mul_f32 v28, v218, v1 :: v_dual_add_nc_u32 v161, 0x3800, v246
	v_mul_f32_e32 v32, v222, v3
	s_wait_dscnt 0x0
	v_mul_f32_e32 v30, v220, v5
	v_mul_f32_e32 v34, v224, v7
	v_fmac_f32_e32 v28, v217, v0
	v_mul_f32_e32 v0, v218, v0
	v_fmac_f32_e32 v32, v221, v2
	v_fmac_f32_e32 v30, v219, v4
	;; [unrolled: 1-line block ×3, first 2 shown]
	s_delay_alu instid0(VALU_DEP_4) | instskip(SKIP_1) | instid1(VALU_DEP_1)
	v_fma_f32 v29, v217, v1, -v0
	v_mul_f32_e32 v0, v220, v4
	v_fma_f32 v31, v219, v5, -v0
	v_mul_f32_e32 v0, v222, v2
	s_delay_alu instid0(VALU_DEP_1) | instskip(SKIP_1) | instid1(VALU_DEP_1)
	v_fma_f32 v33, v221, v3, -v0
	v_mul_f32_e32 v0, v224, v6
	v_fma_f32 v35, v223, v7, -v0
	ds_load_2addr_b64 v[0:3], v247 offset0:120 offset1:220
	ds_load_2addr_b64 v[4:7], v199 offset0:96 offset1:196
	s_wait_dscnt 0x1
	v_mul_f32_e32 v36, v206, v1
	v_mul_f32_e32 v40, v214, v3
	s_wait_dscnt 0x0
	v_mul_f32_e32 v38, v208, v5
	v_mul_f32_e32 v42, v216, v7
	v_fmac_f32_e32 v36, v205, v0
	v_mul_f32_e32 v0, v206, v0
	v_fmac_f32_e32 v40, v213, v2
	v_fmac_f32_e32 v38, v207, v4
	;; [unrolled: 1-line block ×3, first 2 shown]
	s_delay_alu instid0(VALU_DEP_4) | instskip(SKIP_1) | instid1(VALU_DEP_1)
	v_fma_f32 v37, v205, v1, -v0
	v_mul_f32_e32 v0, v208, v4
	v_fma_f32 v39, v207, v5, -v0
	v_mul_f32_e32 v0, v214, v2
	s_delay_alu instid0(VALU_DEP_1) | instskip(SKIP_1) | instid1(VALU_DEP_1)
	v_fma_f32 v41, v213, v3, -v0
	v_mul_f32_e32 v0, v216, v6
	v_fma_f32 v43, v215, v7, -v0
	ds_load_2addr_b64 v[0:3], v191 offset0:64 offset1:164
	ds_load_2addr_b64 v[4:7], v250 offset0:40 offset1:140
	v_add_nc_u32_e32 v250, 0x1800, v246
	s_wait_dscnt 0x1
	v_mul_f32_e32 v136, v181, v1
	v_mul_f32_e32 v140, v202, v3
	s_wait_dscnt 0x0
	v_mul_f32_e32 v138, v183, v5
	v_mul_f32_e32 v142, v204, v7
	v_fmac_f32_e32 v136, v180, v0
	v_mul_f32_e32 v0, v181, v0
	v_fmac_f32_e32 v140, v201, v2
	v_fmac_f32_e32 v138, v182, v4
	;; [unrolled: 1-line block ×3, first 2 shown]
	s_delay_alu instid0(VALU_DEP_4) | instskip(SKIP_1) | instid1(VALU_DEP_1)
	v_fma_f32 v137, v180, v1, -v0
	v_mul_f32_e32 v0, v183, v4
	v_fma_f32 v139, v182, v5, -v0
	v_mul_f32_e32 v0, v202, v2
	s_delay_alu instid0(VALU_DEP_1) | instskip(SKIP_1) | instid1(VALU_DEP_1)
	v_fma_f32 v141, v201, v3, -v0
	v_mul_f32_e32 v0, v204, v6
	v_fma_f32 v143, v203, v7, -v0
	ds_load_2addr_b64 v[0:3], v161 offset0:8 offset1:108
	ds_load_2addr_b64 v[4:7], v189 offset0:112 offset1:212
	s_wait_dscnt 0x1
	v_mul_f32_e32 v144, v173, v1
	v_mul_f32_e32 v148, v177, v3
	s_wait_dscnt 0x0
	v_mul_f32_e32 v146, v175, v5
	v_mul_f32_e32 v150, v179, v7
	v_fmac_f32_e32 v144, v172, v0
	v_mul_f32_e32 v0, v173, v0
	v_fmac_f32_e32 v148, v176, v2
	v_fmac_f32_e32 v146, v174, v4
	;; [unrolled: 1-line block ×3, first 2 shown]
	s_delay_alu instid0(VALU_DEP_4) | instskip(SKIP_2) | instid1(VALU_DEP_2)
	v_fma_f32 v145, v172, v1, -v0
	v_mul_f32_e32 v0, v175, v4
	v_add_f32_e32 v4, v8, v10
	v_fma_f32 v147, v174, v5, -v0
	v_mul_f32_e32 v0, v177, v2
	v_add_f32_e32 v5, v9, v11
	s_delay_alu instid0(VALU_DEP_2) | instskip(SKIP_1) | instid1(VALU_DEP_1)
	v_fma_f32 v149, v176, v3, -v0
	v_mul_f32_e32 v0, v179, v6
	v_fma_f32 v151, v178, v7, -v0
	ds_load_2addr_b64 v[0:3], v246 offset1:100
	s_wait_dscnt 0x0
	v_fma_f32 v20, -0.5, v4, v0
	v_fma_f32 v21, -0.5, v5, v1
	v_dual_add_f32 v1, v1, v9 :: v_dual_add_f32 v0, v0, v8
	s_delay_alu instid0(VALU_DEP_3) | instskip(NEXT) | instid1(VALU_DEP_3)
	v_fmamk_f32 v22, v152, 0xbf5db3d7, v20
	v_fmamk_f32 v23, v153, 0x3f5db3d7, v21
	s_delay_alu instid0(VALU_DEP_3)
	v_dual_add_f32 v1, v1, v11 :: v_dual_add_f32 v0, v0, v10
	ds_load_2addr_b64 v[4:7], v248 offset0:72 offset1:172
	ds_load_2addr_b64 v[8:11], v195 offset0:144 offset1:244
	;; [unrolled: 1-line block ×4, first 2 shown]
	global_wb scope:SCOPE_SE
	s_wait_dscnt 0x0
	s_barrier_signal -1
	s_barrier_wait -1
	global_inv scope:SCOPE_SE
	scratch_load_b32 v158, off, off offset:244 th:TH_LOAD_LU ; 4-byte Folded Reload
	v_fmac_f32_e32 v20, 0x3f5db3d7, v152
	v_fmac_f32_e32 v21, 0xbf5db3d7, v153
	s_wait_loadcnt 0x0
	ds_store_2addr_b64 v158, v[0:1], v[22:23] offset1:10
	v_dual_add_f32 v0, v24, v26 :: v_dual_add_f32 v1, v2, v24
	v_sub_f32_e32 v23, v24, v26
	scratch_load_b32 v24, off, off offset:248 th:TH_LOAD_LU ; 4-byte Folded Reload
	ds_store_b64 v158, v[20:21] offset:160
	v_add_f32_e32 v20, v3, v25
	v_fma_f32 v2, -0.5, v0, v2
	v_add_f32_e32 v0, v1, v26
	v_sub_f32_e32 v22, v25, v27
	s_delay_alu instid0(VALU_DEP_4) | instskip(SKIP_1) | instid1(VALU_DEP_1)
	v_add_f32_e32 v1, v20, v27
	v_add_f32_e32 v20, v25, v27
	v_dual_fmac_f32 v3, -0.5, v20 :: v_dual_fmamk_f32 v20, v22, 0xbf5db3d7, v2
	v_fmac_f32_e32 v2, 0x3f5db3d7, v22
	scratch_load_b32 v22, off, off offset:256 th:TH_LOAD_LU ; 4-byte Folded Reload
	v_fmamk_f32 v21, v23, 0x3f5db3d7, v3
	v_fmac_f32_e32 v3, 0xbf5db3d7, v23
	s_wait_loadcnt 0x1
	ds_store_b64 v24, v[2:3] offset:160
	v_add_f32_e32 v2, v28, v30
	ds_store_2addr_b64 v24, v[0:1], v[20:21] offset1:10
	v_sub_f32_e32 v20, v29, v31
	v_dual_add_f32 v0, v4, v28 :: v_dual_add_f32 v3, v29, v31
	v_fma_f32 v2, -0.5, v2, v4
	v_add_f32_e32 v1, v5, v29
	v_sub_f32_e32 v21, v28, v30
	s_delay_alu instid0(VALU_DEP_4)
	v_add_f32_e32 v0, v0, v30
	v_fma_f32 v3, -0.5, v3, v5
	v_fmamk_f32 v4, v20, 0xbf5db3d7, v2
	v_fmac_f32_e32 v2, 0x3f5db3d7, v20
	scratch_load_b32 v20, off, off offset:232 th:TH_LOAD_LU ; 4-byte Folded Reload
	v_add_f32_e32 v1, v1, v31
	v_fmamk_f32 v5, v21, 0x3f5db3d7, v3
	v_fmac_f32_e32 v3, 0xbf5db3d7, v21
	s_wait_loadcnt 0x1
	ds_store_2addr_b64 v22, v[0:1], v[4:5] offset1:10
	ds_store_b64 v22, v[2:3] offset:160
	v_dual_add_f32 v0, v32, v34 :: v_dual_add_f32 v3, v33, v35
	v_add_f32_e32 v2, v6, v32
	v_dual_sub_f32 v4, v33, v35 :: v_dual_sub_f32 v5, v32, v34
	s_delay_alu instid0(VALU_DEP_3) | instskip(NEXT) | instid1(VALU_DEP_4)
	v_fma_f32 v6, -0.5, v0, v6
	v_dual_add_f32 v0, v7, v33 :: v_dual_fmac_f32 v7, -0.5, v3
	s_delay_alu instid0(VALU_DEP_1) | instskip(NEXT) | instid1(VALU_DEP_3)
	v_dual_add_f32 v1, v0, v35 :: v_dual_add_f32 v0, v2, v34
	v_fmamk_f32 v2, v4, 0xbf5db3d7, v6
	s_delay_alu instid0(VALU_DEP_3)
	v_dual_fmamk_f32 v3, v5, 0x3f5db3d7, v7 :: v_dual_fmac_f32 v6, 0x3f5db3d7, v4
	v_fmac_f32_e32 v7, 0xbf5db3d7, v5
	s_wait_loadcnt 0x0
	ds_store_2addr_b64 v20, v[0:1], v[2:3] offset1:10
	v_add_f32_e32 v2, v36, v38
	v_add_f32_e32 v0, v8, v36
	ds_store_b64 v20, v[6:7] offset:160
	v_sub_f32_e32 v6, v37, v39
	v_add_f32_e32 v3, v37, v39
	v_fma_f32 v2, -0.5, v2, v8
	scratch_load_b32 v8, off, off offset:228 th:TH_LOAD_LU ; 4-byte Folded Reload
	v_add_f32_e32 v1, v9, v37
	v_sub_f32_e32 v7, v36, v38
	v_fma_f32 v3, -0.5, v3, v9
	v_fmamk_f32 v4, v6, 0xbf5db3d7, v2
	v_fmac_f32_e32 v2, 0x3f5db3d7, v6
	scratch_load_b32 v6, off, off offset:252 th:TH_LOAD_LU ; 4-byte Folded Reload
	v_dual_add_f32 v0, v0, v38 :: v_dual_add_f32 v1, v1, v39
	v_fmamk_f32 v5, v7, 0x3f5db3d7, v3
	v_fmac_f32_e32 v3, 0xbf5db3d7, v7
	v_sub_f32_e32 v7, v136, v138
	s_wait_loadcnt 0x1
	ds_store_2addr_b64 v8, v[0:1], v[4:5] offset1:10
	v_add_f32_e32 v0, v40, v42
	ds_store_b64 v8, v[2:3] offset:160
	v_dual_add_f32 v2, v10, v40 :: v_dual_add_f32 v1, v11, v41
	v_sub_f32_e32 v4, v41, v43
	v_fma_f32 v10, -0.5, v0, v10
	v_dual_add_f32 v0, v41, v43 :: v_dual_sub_f32 v5, v40, v42
	scratch_load_b32 v8, off, off offset:260 th:TH_LOAD_LU ; 4-byte Folded Reload
	v_add_f32_e32 v1, v1, v43
	v_dual_fmac_f32 v11, -0.5, v0 :: v_dual_add_f32 v0, v2, v42
	v_fmamk_f32 v2, v4, 0xbf5db3d7, v10
	s_delay_alu instid0(VALU_DEP_2)
	v_dual_fmac_f32 v10, 0x3f5db3d7, v4 :: v_dual_fmamk_f32 v3, v5, 0x3f5db3d7, v11
	v_fmac_f32_e32 v11, 0xbf5db3d7, v5
	s_wait_loadcnt 0x1
	ds_store_2addr_b64 v6, v[0:1], v[2:3] offset1:10
	v_add_f32_e32 v2, v136, v138
	ds_store_b64 v6, v[10:11] offset:160
	v_sub_f32_e32 v6, v137, v139
	v_add_f32_e32 v0, v13, v137
	v_add_f32_e32 v3, v137, v139
	v_fma_f32 v2, -0.5, v2, v12
	s_delay_alu instid0(VALU_DEP_3) | instskip(SKIP_1) | instid1(VALU_DEP_3)
	v_add_f32_e32 v1, v0, v139
	v_add_f32_e32 v0, v12, v136
	v_fmamk_f32 v4, v6, 0xbf5db3d7, v2
	v_fmac_f32_e32 v2, 0x3f5db3d7, v6
	scratch_load_b32 v6, off, off offset:268 th:TH_LOAD_LU ; 4-byte Folded Reload
	v_fma_f32 v3, -0.5, v3, v13
	s_delay_alu instid0(VALU_DEP_1)
	v_dual_add_f32 v0, v0, v138 :: v_dual_fmamk_f32 v5, v7, 0x3f5db3d7, v3
	v_fmac_f32_e32 v3, 0xbf5db3d7, v7
	v_sub_f32_e32 v7, v144, v146
	s_wait_loadcnt 0x1
	ds_store_2addr_b64 v8, v[0:1], v[4:5] offset1:10
	v_add_f32_e32 v0, v140, v142
	ds_store_b64 v8, v[2:3] offset:160
	v_dual_add_f32 v2, v14, v140 :: v_dual_add_f32 v1, v15, v141
	v_sub_f32_e32 v4, v141, v143
	v_fma_f32 v14, -0.5, v0, v14
	v_dual_add_f32 v0, v141, v143 :: v_dual_sub_f32 v5, v140, v142
	scratch_load_b32 v8, off, off offset:272 th:TH_LOAD_LU ; 4-byte Folded Reload
	v_add_f32_e32 v1, v1, v143
	v_dual_fmac_f32 v15, -0.5, v0 :: v_dual_add_f32 v0, v2, v142
	v_fmamk_f32 v2, v4, 0xbf5db3d7, v14
	s_delay_alu instid0(VALU_DEP_2)
	v_dual_fmac_f32 v14, 0x3f5db3d7, v4 :: v_dual_fmamk_f32 v3, v5, 0x3f5db3d7, v15
	v_fmac_f32_e32 v15, 0xbf5db3d7, v5
	s_wait_loadcnt 0x1
	ds_store_2addr_b64 v6, v[0:1], v[2:3] offset1:10
	v_add_f32_e32 v2, v144, v146
	ds_store_b64 v6, v[14:15] offset:160
	v_sub_f32_e32 v6, v145, v147
	v_dual_add_f32 v3, v145, v147 :: v_dual_add_f32 v0, v16, v144
	v_fma_f32 v2, -0.5, v2, v16
	v_add_f32_e32 v1, v17, v145
	s_delay_alu instid0(VALU_DEP_3) | instskip(NEXT) | instid1(VALU_DEP_4)
	v_fma_f32 v3, -0.5, v3, v17
	v_add_f32_e32 v0, v0, v146
	s_delay_alu instid0(VALU_DEP_4)
	v_fmamk_f32 v4, v6, 0xbf5db3d7, v2
	v_fmac_f32_e32 v2, 0x3f5db3d7, v6
	scratch_load_b32 v6, off, off offset:264 th:TH_LOAD_LU ; 4-byte Folded Reload
	v_add_f32_e32 v1, v1, v147
	v_fmamk_f32 v5, v7, 0x3f5db3d7, v3
	v_fmac_f32_e32 v3, 0xbf5db3d7, v7
	s_wait_loadcnt 0x1
	ds_store_2addr_b64 v8, v[0:1], v[4:5] offset1:10
	ds_store_b64 v8, v[2:3] offset:160
	v_dual_add_f32 v0, v148, v150 :: v_dual_add_f32 v1, v18, v148
	v_add_f32_e32 v2, v19, v149
	v_dual_sub_f32 v4, v149, v151 :: v_dual_sub_f32 v5, v148, v150
	s_delay_alu instid0(VALU_DEP_3) | instskip(NEXT) | instid1(VALU_DEP_3)
	v_fma_f32 v18, -0.5, v0, v18
	v_dual_add_f32 v0, v1, v150 :: v_dual_add_f32 v1, v2, v151
	v_add_f32_e32 v2, v149, v151
	s_delay_alu instid0(VALU_DEP_1) | instskip(NEXT) | instid1(VALU_DEP_1)
	v_dual_fmac_f32 v19, -0.5, v2 :: v_dual_fmamk_f32 v2, v4, 0xbf5db3d7, v18
	v_dual_fmac_f32 v18, 0x3f5db3d7, v4 :: v_dual_fmamk_f32 v3, v5, 0x3f5db3d7, v19
	v_fmac_f32_e32 v19, 0xbf5db3d7, v5
	s_wait_loadcnt 0x0
	ds_store_2addr_b64 v6, v[0:1], v[2:3] offset1:10
	ds_store_b64 v6, v[18:19] offset:160
	global_wb scope:SCOPE_SE
	s_wait_dscnt 0x0
	s_barrier_signal -1
	s_barrier_wait -1
	global_inv scope:SCOPE_SE
	ds_load_2addr_b64 v[0:3], v189 offset0:112 offset1:212
	s_wait_dscnt 0x0
	v_mul_f32_e32 v24, v198, v1
	v_mul_f32_e32 v10, v238, v3
	s_delay_alu instid0(VALU_DEP_2) | instskip(SKIP_1) | instid1(VALU_DEP_3)
	v_fmac_f32_e32 v24, v197, v0
	v_mul_f32_e32 v0, v198, v0
	v_fmac_f32_e32 v10, v237, v2
	s_delay_alu instid0(VALU_DEP_2) | instskip(SKIP_1) | instid1(VALU_DEP_1)
	v_fma_f32 v25, v197, v1, -v0
	v_mul_f32_e32 v0, v238, v2
	v_fma_f32 v11, v237, v3, -v0
	ds_load_2addr_b64 v[0:3], v232 offset0:40 offset1:140
	s_wait_dscnt 0x0
	v_mul_f32_e32 v137, v210, v3
	v_mul_f32_e32 v15, v95, v1
	s_delay_alu instid0(VALU_DEP_2) | instskip(SKIP_1) | instid1(VALU_DEP_3)
	v_fmac_f32_e32 v137, v209, v2
	v_mul_f32_e32 v2, v210, v2
	v_fmac_f32_e32 v15, v94, v0
	v_mul_f32_e32 v0, v95, v0
	s_delay_alu instid0(VALU_DEP_3) | instskip(NEXT) | instid1(VALU_DEP_2)
	v_fma_f32 v136, v209, v3, -v2
	v_fma_f32 v14, v94, v1, -v0
	ds_load_2addr_b64 v[0:3], v156 offset0:152 offset1:252
	s_wait_dscnt 0x0
	v_mul_f32_e32 v13, v93, v3
	v_mul_f32_e32 v31, v85, v1
	s_delay_alu instid0(VALU_DEP_2) | instskip(NEXT) | instid1(VALU_DEP_2)
	v_fmac_f32_e32 v13, v92, v2
	v_dual_mul_f32 v2, v93, v2 :: v_dual_fmac_f32 v31, v84, v0
	v_mul_f32_e32 v0, v85, v0
	s_delay_alu instid0(VALU_DEP_2) | instskip(NEXT) | instid1(VALU_DEP_2)
	v_fma_f32 v12, v92, v3, -v2
	v_fma_f32 v30, v84, v1, -v0
	ds_load_2addr_b64 v[0:3], v199 offset0:96 offset1:196
	s_wait_dscnt 0x0
	v_mul_f32_e32 v34, v87, v3
	v_mul_f32_e32 v84, v75, v1
	s_delay_alu instid0(VALU_DEP_2) | instskip(SKIP_1) | instid1(VALU_DEP_3)
	v_fmac_f32_e32 v34, v86, v2
	v_mul_f32_e32 v2, v87, v2
	v_fmac_f32_e32 v84, v74, v0
	v_mul_f32_e32 v0, v75, v0
	s_delay_alu instid0(VALU_DEP_3) | instskip(NEXT) | instid1(VALU_DEP_2)
	v_fma_f32 v33, v86, v3, -v2
	v_fma_f32 v75, v74, v1, -v0
	ds_load_2addr_b64 v[0:3], v245 offset0:80 offset1:180
	s_wait_dscnt 0x0
	v_dual_mul_f32 v74, v73, v3 :: v_dual_mul_f32 v19, v91, v1
	s_delay_alu instid0(VALU_DEP_1) | instskip(NEXT) | instid1(VALU_DEP_2)
	v_fmac_f32_e32 v74, v72, v2
	v_dual_mul_f32 v2, v73, v2 :: v_dual_fmac_f32 v19, v90, v0
	v_mul_f32_e32 v0, v91, v0
	s_delay_alu instid0(VALU_DEP_2) | instskip(NEXT) | instid1(VALU_DEP_2)
	v_fma_f32 v72, v72, v3, -v2
	v_fma_f32 v18, v90, v1, -v0
	ds_load_2addr_b64 v[0:3], v191 offset0:64 offset1:164
	s_wait_dscnt 0x0
	v_mul_f32_e32 v17, v89, v3
	v_mul_f32_e32 v35, v65, v1
	s_delay_alu instid0(VALU_DEP_2) | instskip(NEXT) | instid1(VALU_DEP_2)
	v_fmac_f32_e32 v17, v88, v2
	v_dual_mul_f32 v2, v89, v2 :: v_dual_fmac_f32 v35, v64, v0
	v_mul_f32_e32 v0, v65, v0
	s_delay_alu instid0(VALU_DEP_2) | instskip(NEXT) | instid1(VALU_DEP_2)
	v_fma_f32 v16, v88, v3, -v2
	v_fma_f32 v32, v64, v1, -v0
	ds_load_2addr_b64 v[0:3], v161 offset0:8 offset1:108
	s_wait_dscnt 0x0
	v_mul_f32_e32 v39, v67, v3
	s_delay_alu instid0(VALU_DEP_1) | instskip(SKIP_1) | instid1(VALU_DEP_2)
	v_dual_mul_f32 v64, v63, v1 :: v_dual_fmac_f32 v39, v66, v2
	v_mul_f32_e32 v2, v67, v2
	v_fmac_f32_e32 v64, v62, v0
	v_mul_f32_e32 v0, v63, v0
	s_delay_alu instid0(VALU_DEP_3) | instskip(NEXT) | instid1(VALU_DEP_2)
	v_fma_f32 v37, v66, v3, -v2
	v_fma_f32 v63, v62, v1, -v0
	ds_load_2addr_b64 v[0:3], v247 offset0:120 offset1:220
	s_wait_dscnt 0x0
	v_mul_f32_e32 v27, v79, v1
	s_delay_alu instid0(VALU_DEP_1) | instskip(SKIP_1) | instid1(VALU_DEP_1)
	v_fmac_f32_e32 v27, v78, v0
	v_mul_f32_e32 v0, v79, v0
	v_fma_f32 v26, v78, v1, -v0
	v_mul_f32_e32 v62, v61, v3
	s_delay_alu instid0(VALU_DEP_1) | instskip(SKIP_1) | instid1(VALU_DEP_1)
	v_fmac_f32_e32 v62, v60, v2
	v_mul_f32_e32 v2, v61, v2
	v_fma_f32 v60, v60, v3, -v2
	ds_load_2addr_b64 v[0:3], v193 offset0:104 offset1:204
	s_wait_dscnt 0x0
	v_mul_f32_e32 v23, v77, v3
	v_mul_f32_e32 v41, v57, v1
	s_delay_alu instid0(VALU_DEP_2) | instskip(NEXT) | instid1(VALU_DEP_2)
	v_fmac_f32_e32 v23, v76, v2
	v_dual_mul_f32 v2, v77, v2 :: v_dual_fmac_f32 v41, v56, v0
	v_mul_f32_e32 v0, v57, v0
	s_delay_alu instid0(VALU_DEP_2) | instskip(NEXT) | instid1(VALU_DEP_2)
	v_fma_f32 v20, v76, v3, -v2
	v_fma_f32 v36, v56, v1, -v0
	ds_load_2addr_b64 v[0:3], v159 offset0:48 offset1:148
	s_wait_dscnt 0x0
	v_mul_f32_e32 v43, v59, v3
	s_delay_alu instid0(VALU_DEP_1) | instskip(SKIP_1) | instid1(VALU_DEP_1)
	v_fmac_f32_e32 v43, v58, v2
	v_mul_f32_e32 v2, v59, v2
	v_fma_f32 v42, v58, v3, -v2
	v_mul_f32_e32 v58, v47, v1
	s_delay_alu instid0(VALU_DEP_1) | instskip(SKIP_1) | instid1(VALU_DEP_2)
	v_fmac_f32_e32 v58, v46, v0
	v_mul_f32_e32 v0, v47, v0
	v_sub_f32_e32 v89, v58, v64
	s_delay_alu instid0(VALU_DEP_2)
	v_fma_f32 v57, v46, v1, -v0
	ds_load_2addr_b64 v[0:3], v250 offset0:32 offset1:132
	v_add_f32_e32 v9, v57, v63
	v_sub_f32_e32 v86, v57, v63
	s_wait_dscnt 0x0
	v_mul_f32_e32 v28, v71, v1
	s_delay_alu instid0(VALU_DEP_1) | instskip(SKIP_1) | instid1(VALU_DEP_1)
	v_fmac_f32_e32 v28, v70, v0
	v_mul_f32_e32 v0, v71, v0
	v_fma_f32 v29, v70, v1, -v0
	v_mul_f32_e32 v56, v45, v3
	s_delay_alu instid0(VALU_DEP_1) | instskip(NEXT) | instid1(VALU_DEP_1)
	v_fmac_f32_e32 v56, v44, v2
	v_dual_mul_f32 v2, v45, v2 :: v_dual_sub_f32 v71, v56, v137
	s_delay_alu instid0(VALU_DEP_1) | instskip(SKIP_4) | instid1(VALU_DEP_1)
	v_fma_f32 v47, v44, v3, -v2
	ds_load_2addr_b64 v[0:3], v195 offset0:144 offset1:244
	v_sub_f32_e32 v73, v47, v136
	s_wait_dscnt 0x0
	v_mul_f32_e32 v21, v69, v3
	v_dual_mul_f32 v38, v49, v1 :: v_dual_fmac_f32 v21, v68, v2
	v_mul_f32_e32 v2, v69, v2
	s_delay_alu instid0(VALU_DEP_2) | instskip(SKIP_2) | instid1(VALU_DEP_4)
	v_fmac_f32_e32 v38, v48, v0
	v_mul_f32_e32 v0, v49, v0
	v_sub_f32_e32 v69, v60, v72
	v_fma_f32 v22, v68, v3, -v2
	v_sub_f32_e32 v68, v62, v74
	s_delay_alu instid0(VALU_DEP_4) | instskip(SKIP_3) | instid1(VALU_DEP_1)
	v_fma_f32 v40, v48, v1, -v0
	ds_load_2addr_b64 v[0:3], v211 offset0:88 offset1:188
	s_wait_dscnt 0x0
	v_mul_f32_e32 v44, v51, v3
	v_fmac_f32_e32 v44, v50, v2
	v_dual_mul_f32 v2, v51, v2 :: v_dual_mul_f32 v51, v254, v1
	s_delay_alu instid0(VALU_DEP_1) | instskip(SKIP_3) | instid1(VALU_DEP_2)
	v_fma_f32 v45, v50, v3, -v2
	ds_load_2addr_b64 v[2:5], v248 offset0:72 offset1:172
	v_fmac_f32_e32 v51, v253, v0
	v_mul_f32_e32 v0, v254, v0
	v_sub_f32_e32 v90, v51, v84
	s_delay_alu instid0(VALU_DEP_2) | instskip(SKIP_2) | instid1(VALU_DEP_2)
	v_fma_f32 v59, v253, v1, -v0
	v_sub_f32_e32 v1, v84, v64
	s_wait_dscnt 0x0
	v_dual_sub_f32 v87, v59, v75 :: v_dual_mul_f32 v48, v252, v5
	v_mul_f32_e32 v0, v252, v4
	s_delay_alu instid0(VALU_DEP_2) | instskip(NEXT) | instid1(VALU_DEP_2)
	v_fmac_f32_e32 v48, v251, v4
	v_fma_f32 v49, v251, v5, -v0
	ds_load_2addr_b64 v[4:7], v246 offset1:100
	global_wb scope:SCOPE_SE
	s_wait_dscnt 0x0
	s_barrier_signal -1
	s_barrier_wait -1
	global_inv scope:SCOPE_SE
	scratch_load_b32 v147, off, off offset:304 th:TH_LOAD_LU ; 4-byte Folded Reload
	v_sub_f32_e32 v0, v51, v58
	v_add_f32_e32 v8, v49, v47
	s_delay_alu instid0(VALU_DEP_2) | instskip(SKIP_1) | instid1(VALU_DEP_3)
	v_add_f32_e32 v46, v0, v1
	v_sub_f32_e32 v0, v59, v57
	v_dual_sub_f32 v1, v75, v63 :: v_dual_add_f32 v8, v8, v60
	s_delay_alu instid0(VALU_DEP_1) | instskip(SKIP_4) | instid1(VALU_DEP_3)
	v_add_f32_e32 v50, v0, v1
	v_sub_f32_e32 v0, v56, v62
	v_sub_f32_e32 v1, v137, v74
	v_fma_f32 v78, -0.5, v9, v5
	v_add_f32_e32 v8, v8, v72
	v_dual_add_f32 v61, v0, v1 :: v_dual_sub_f32 v0, v47, v60
	v_sub_f32_e32 v1, v136, v72
	s_delay_alu instid0(VALU_DEP_4) | instskip(NEXT) | instid1(VALU_DEP_4)
	v_fmamk_f32 v85, v90, 0x3f737871, v78
	v_dual_add_f32 v93, v8, v136 :: v_dual_fmac_f32 v78, 0xbf737871, v90
	s_delay_alu instid0(VALU_DEP_3) | instskip(NEXT) | instid1(VALU_DEP_3)
	v_dual_add_f32 v67, v0, v1 :: v_dual_add_f32 v0, v62, v74
	v_fmac_f32_e32 v85, 0x3f167918, v89
	s_delay_alu instid0(VALU_DEP_3) | instskip(NEXT) | instid1(VALU_DEP_3)
	v_fmac_f32_e32 v78, 0xbf167918, v89
	v_fma_f32 v65, -0.5, v0, v48
	s_delay_alu instid0(VALU_DEP_3) | instskip(NEXT) | instid1(VALU_DEP_3)
	v_dual_add_f32 v0, v60, v72 :: v_dual_fmac_f32 v85, 0x3e9e377a, v50
	v_fmac_f32_e32 v78, 0x3e9e377a, v50
	s_delay_alu instid0(VALU_DEP_3) | instskip(NEXT) | instid1(VALU_DEP_3)
	v_fmamk_f32 v1, v73, 0xbf737871, v65
	v_fma_f32 v66, -0.5, v0, v49
	v_fmac_f32_e32 v65, 0x3f737871, v73
	s_delay_alu instid0(VALU_DEP_3) | instskip(NEXT) | instid1(VALU_DEP_3)
	v_fmac_f32_e32 v1, 0xbf167918, v69
	v_fmamk_f32 v0, v71, 0x3f737871, v66
	v_fmac_f32_e32 v66, 0xbf737871, v71
	s_delay_alu instid0(VALU_DEP_4) | instskip(NEXT) | instid1(VALU_DEP_4)
	v_fmac_f32_e32 v65, 0x3f167918, v69
	v_fmac_f32_e32 v1, 0x3e9e377a, v61
	s_delay_alu instid0(VALU_DEP_4) | instskip(NEXT) | instid1(VALU_DEP_4)
	v_fmac_f32_e32 v0, 0x3f167918, v68
	v_fmac_f32_e32 v66, 0xbf167918, v68
	s_delay_alu instid0(VALU_DEP_4) | instskip(NEXT) | instid1(VALU_DEP_3)
	v_fmac_f32_e32 v65, 0x3e9e377a, v61
	v_dual_sub_f32 v61, v45, v33 :: v_dual_fmac_f32 v0, 0x3e9e377a, v67
	s_delay_alu instid0(VALU_DEP_3) | instskip(NEXT) | instid1(VALU_DEP_2)
	v_fmac_f32_e32 v66, 0x3e9e377a, v67
	v_mul_f32_e32 v70, 0xbf167918, v0
	v_mul_f32_e32 v76, 0x3f4f1bbd, v0
	v_add_f32_e32 v0, v4, v51
	s_delay_alu instid0(VALU_DEP_3) | instskip(NEXT) | instid1(VALU_DEP_3)
	v_fmac_f32_e32 v70, 0x3f4f1bbd, v1
	v_fmac_f32_e32 v76, 0x3f167918, v1
	s_delay_alu instid0(VALU_DEP_3) | instskip(NEXT) | instid1(VALU_DEP_2)
	v_dual_add_f32 v0, v0, v58 :: v_dual_add_f32 v1, v58, v64
	v_add_f32_e32 v9, v85, v76
	s_delay_alu instid0(VALU_DEP_2) | instskip(NEXT) | instid1(VALU_DEP_3)
	v_add_f32_e32 v0, v0, v64
	v_fma_f32 v77, -0.5, v1, v4
	v_add_f32_e32 v1, v48, v56
	s_delay_alu instid0(VALU_DEP_3) | instskip(NEXT) | instid1(VALU_DEP_3)
	v_add_f32_e32 v88, v0, v84
	v_dual_add_f32 v0, v5, v59 :: v_dual_fmamk_f32 v79, v87, 0xbf737871, v77
	s_delay_alu instid0(VALU_DEP_3) | instskip(NEXT) | instid1(VALU_DEP_2)
	v_add_f32_e32 v1, v1, v62
	v_dual_fmac_f32 v77, 0x3f737871, v87 :: v_dual_add_f32 v0, v0, v57
	s_delay_alu instid0(VALU_DEP_3) | instskip(NEXT) | instid1(VALU_DEP_3)
	v_fmac_f32_e32 v79, 0xbf167918, v86
	v_add_f32_e32 v1, v1, v74
	s_delay_alu instid0(VALU_DEP_3) | instskip(NEXT) | instid1(VALU_DEP_2)
	v_dual_fmac_f32 v77, 0x3f167918, v86 :: v_dual_add_f32 v0, v0, v63
	v_dual_fmac_f32 v79, 0x3e9e377a, v46 :: v_dual_add_f32 v92, v1, v137
	s_delay_alu instid0(VALU_DEP_2) | instskip(NEXT) | instid1(VALU_DEP_3)
	v_fmac_f32_e32 v77, 0x3e9e377a, v46
	v_dual_mul_f32 v46, 0xbf167918, v66 :: v_dual_add_f32 v91, v0, v75
	s_delay_alu instid0(VALU_DEP_3) | instskip(NEXT) | instid1(VALU_DEP_4)
	v_add_f32_e32 v8, v79, v70
	v_add_f32_e32 v0, v88, v92
	s_delay_alu instid0(VALU_DEP_3) | instskip(NEXT) | instid1(VALU_DEP_4)
	v_fmac_f32_e32 v46, 0xbf4f1bbd, v65
	v_add_f32_e32 v1, v91, v93
	s_wait_loadcnt 0x0
	ds_store_2addr_b64 v147, v[0:1], v[8:9] offset1:30
	v_add_f32_e32 v8, v51, v84
	v_dual_sub_f32 v0, v58, v51 :: v_dual_sub_f32 v1, v64, v84
	v_add_f32_e32 v9, v59, v75
	v_sub_f32_e32 v51, v63, v75
	s_delay_alu instid0(VALU_DEP_4) | instskip(SKIP_3) | instid1(VALU_DEP_4)
	v_fma_f32 v8, -0.5, v8, v4
	v_add_f32_e32 v4, v56, v137
	v_dual_add_f32 v0, v0, v1 :: v_dual_sub_f32 v1, v57, v59
	v_fma_f32 v9, -0.5, v9, v5
	v_fmamk_f32 v57, v86, 0x3f737871, v8
	v_fmac_f32_e32 v8, 0xbf737871, v86
	v_fmac_f32_e32 v48, -0.5, v4
	v_dual_sub_f32 v4, v72, v136 :: v_dual_sub_f32 v63, v42, v37
	s_delay_alu instid0(VALU_DEP_4) | instskip(NEXT) | instid1(VALU_DEP_4)
	v_fmac_f32_e32 v57, 0xbf167918, v87
	v_fmac_f32_e32 v8, 0x3f167918, v87
	s_delay_alu instid0(VALU_DEP_4) | instskip(SKIP_1) | instid1(VALU_DEP_4)
	v_fmamk_f32 v5, v69, 0x3f737871, v48
	v_fmac_f32_e32 v48, 0xbf737871, v69
	v_fmac_f32_e32 v57, 0x3e9e377a, v0
	s_delay_alu instid0(VALU_DEP_4)
	v_fmac_f32_e32 v8, 0x3e9e377a, v0
	v_dual_add_f32 v0, v1, v51 :: v_dual_sub_f32 v1, v62, v56
	v_fmamk_f32 v56, v89, 0xbf737871, v9
	v_fmac_f32_e32 v9, 0x3f737871, v89
	v_sub_f32_e32 v51, v74, v137
	v_fmac_f32_e32 v5, 0xbf167918, v73
	v_fmac_f32_e32 v48, 0x3f167918, v73
	;; [unrolled: 1-line block ×4, first 2 shown]
	s_delay_alu instid0(VALU_DEP_2) | instskip(NEXT) | instid1(VALU_DEP_2)
	v_fmac_f32_e32 v56, 0x3e9e377a, v0
	v_dual_fmac_f32 v9, 0x3e9e377a, v0 :: v_dual_add_f32 v0, v1, v51
	v_add_f32_e32 v1, v47, v136
	s_delay_alu instid0(VALU_DEP_2) | instskip(NEXT) | instid1(VALU_DEP_2)
	v_fmac_f32_e32 v5, 0x3e9e377a, v0
	v_fmac_f32_e32 v49, -0.5, v1
	v_dual_sub_f32 v1, v60, v47 :: v_dual_fmac_f32 v48, 0x3e9e377a, v0
	s_delay_alu instid0(VALU_DEP_1) | instskip(SKIP_1) | instid1(VALU_DEP_2)
	v_dual_add_f32 v0, v1, v4 :: v_dual_fmamk_f32 v1, v68, 0xbf737871, v49
	v_dual_fmac_f32 v49, 0x3f737871, v68 :: v_dual_sub_f32 v68, v43, v39
	v_fmac_f32_e32 v1, 0x3f167918, v71
	s_delay_alu instid0(VALU_DEP_2) | instskip(NEXT) | instid1(VALU_DEP_2)
	v_fmac_f32_e32 v49, 0xbf167918, v71
	v_fmac_f32_e32 v1, 0x3e9e377a, v0
	s_delay_alu instid0(VALU_DEP_2) | instskip(NEXT) | instid1(VALU_DEP_2)
	v_fmac_f32_e32 v49, 0x3e9e377a, v0
	v_mul_f32_e32 v47, 0xbf737871, v1
	v_mul_f32_e32 v51, 0x3e9e377a, v1
	s_delay_alu instid0(VALU_DEP_3) | instskip(SKIP_1) | instid1(VALU_DEP_4)
	v_mul_f32_e32 v58, 0xbf737871, v49
	v_mul_f32_e32 v49, 0xbe9e377a, v49
	v_fmac_f32_e32 v47, 0x3e9e377a, v5
	s_delay_alu instid0(VALU_DEP_4) | instskip(NEXT) | instid1(VALU_DEP_4)
	v_fmac_f32_e32 v51, 0x3f737871, v5
	v_fmac_f32_e32 v58, 0xbe9e377a, v48
	s_delay_alu instid0(VALU_DEP_4) | instskip(SKIP_3) | instid1(VALU_DEP_4)
	v_fmac_f32_e32 v49, 0x3f737871, v48
	v_mul_f32_e32 v48, 0xbf4f1bbd, v66
	v_add_f32_e32 v0, v57, v47
	v_add_f32_e32 v1, v56, v51
	v_dual_add_f32 v4, v8, v58 :: v_dual_add_f32 v5, v9, v49
	s_delay_alu instid0(VALU_DEP_4)
	v_fmac_f32_e32 v48, 0x3f167918, v65
	v_sub_f32_e32 v66, v44, v34
	ds_store_2addr_b64 v147, v[0:1], v[4:5] offset0:60 offset1:90
	v_dual_sub_f32 v0, v88, v92 :: v_dual_sub_f32 v1, v91, v93
	v_dual_add_f32 v4, v77, v46 :: v_dual_add_f32 v5, v78, v48
	v_add_nc_u32_e32 v91, 0x1400, v246
	ds_store_2addr_b64 v147, v[4:5], v[0:1] offset0:120 offset1:150
	v_dual_sub_f32 v0, v79, v70 :: v_dual_sub_f32 v1, v85, v76
	v_sub_f32_e32 v4, v57, v47
	v_sub_f32_e32 v5, v56, v51
	v_dual_sub_f32 v51, v35, v31 :: v_dual_sub_f32 v56, v36, v25
	v_sub_f32_e32 v57, v32, v30
	ds_store_2addr_b64 v147, v[0:1], v[4:5] offset0:180 offset1:210
	v_sub_f32_e32 v0, v8, v58
	scratch_load_b32 v8, off, off offset:292 th:TH_LOAD_LU ; 4-byte Folded Reload
	v_sub_f32_e32 v1, v9, v49
	v_dual_sub_f32 v4, v77, v46 :: v_dual_sub_f32 v5, v78, v48
	s_wait_loadcnt 0x0
	ds_store_2addr_b64 v8, v[0:1], v[4:5] offset0:112 offset1:142
	v_sub_f32_e32 v0, v44, v43
	v_sub_f32_e32 v1, v34, v39
	v_dual_add_f32 v5, v42, v37 :: v_dual_add_f32 v4, v40, v36
	s_delay_alu instid0(VALU_DEP_2) | instskip(SKIP_2) | instid1(VALU_DEP_4)
	v_add_f32_e32 v8, v0, v1
	v_sub_f32_e32 v0, v45, v42
	v_sub_f32_e32 v1, v33, v37
	v_fma_f32 v65, -0.5, v5, v7
	v_add_f32_e32 v4, v4, v32
	s_delay_alu instid0(VALU_DEP_3) | instskip(NEXT) | instid1(VALU_DEP_3)
	v_dual_add_f32 v9, v0, v1 :: v_dual_sub_f32 v0, v41, v35
	v_fmamk_f32 v67, v66, 0x3f737871, v65
	v_fmac_f32_e32 v65, 0xbf737871, v66
	v_dual_sub_f32 v1, v24, v31 :: v_dual_sub_f32 v50, v41, v24
	s_delay_alu instid0(VALU_DEP_3) | instskip(NEXT) | instid1(VALU_DEP_2)
	v_dual_add_f32 v4, v4, v30 :: v_dual_fmac_f32 v67, 0x3f167918, v68
	v_dual_fmac_f32 v65, 0xbf167918, v68 :: v_dual_add_f32 v46, v0, v1
	v_dual_sub_f32 v0, v36, v32 :: v_dual_sub_f32 v1, v25, v30
	s_delay_alu instid0(VALU_DEP_3) | instskip(NEXT) | instid1(VALU_DEP_4)
	v_add_f32_e32 v71, v4, v25
	v_fmac_f32_e32 v67, 0x3e9e377a, v9
	s_delay_alu instid0(VALU_DEP_4) | instskip(NEXT) | instid1(VALU_DEP_4)
	v_fmac_f32_e32 v65, 0x3e9e377a, v9
	v_dual_add_f32 v47, v0, v1 :: v_dual_add_f32 v0, v35, v31
	s_delay_alu instid0(VALU_DEP_1) | instskip(SKIP_1) | instid1(VALU_DEP_2)
	v_fma_f32 v48, -0.5, v0, v38
	v_add_f32_e32 v0, v32, v30
	v_fmamk_f32 v1, v56, 0xbf737871, v48
	s_delay_alu instid0(VALU_DEP_2) | instskip(SKIP_1) | instid1(VALU_DEP_3)
	v_fma_f32 v49, -0.5, v0, v40
	v_fmac_f32_e32 v48, 0x3f737871, v56
	v_fmac_f32_e32 v1, 0xbf167918, v57
	s_delay_alu instid0(VALU_DEP_3) | instskip(SKIP_1) | instid1(VALU_DEP_4)
	v_fmamk_f32 v0, v50, 0x3f737871, v49
	v_fmac_f32_e32 v49, 0xbf737871, v50
	v_fmac_f32_e32 v48, 0x3f167918, v57
	s_delay_alu instid0(VALU_DEP_4) | instskip(NEXT) | instid1(VALU_DEP_4)
	v_fmac_f32_e32 v1, 0x3e9e377a, v46
	v_fmac_f32_e32 v0, 0x3f167918, v51
	s_delay_alu instid0(VALU_DEP_4) | instskip(NEXT) | instid1(VALU_DEP_4)
	v_fmac_f32_e32 v49, 0xbf167918, v51
	v_fmac_f32_e32 v48, 0x3e9e377a, v46
	s_delay_alu instid0(VALU_DEP_3) | instskip(NEXT) | instid1(VALU_DEP_3)
	v_fmac_f32_e32 v0, 0x3e9e377a, v47
	v_fmac_f32_e32 v49, 0x3e9e377a, v47
	s_delay_alu instid0(VALU_DEP_2) | instskip(SKIP_1) | instid1(VALU_DEP_3)
	v_mul_f32_e32 v58, 0xbf167918, v0
	v_mul_f32_e32 v59, 0x3f4f1bbd, v0
	v_dual_add_f32 v0, v6, v44 :: v_dual_mul_f32 v9, 0xbf4f1bbd, v49
	s_delay_alu instid0(VALU_DEP_3) | instskip(NEXT) | instid1(VALU_DEP_2)
	v_fmac_f32_e32 v58, 0x3f4f1bbd, v1
	v_dual_fmac_f32 v59, 0x3f167918, v1 :: v_dual_add_f32 v0, v0, v43
	v_add_f32_e32 v1, v43, v39
	s_delay_alu instid0(VALU_DEP_4) | instskip(NEXT) | instid1(VALU_DEP_3)
	v_fmac_f32_e32 v9, 0x3f167918, v48
	v_add_f32_e32 v5, v67, v59
	s_delay_alu instid0(VALU_DEP_4) | instskip(NEXT) | instid1(VALU_DEP_4)
	v_add_f32_e32 v0, v0, v39
	v_fma_f32 v60, -0.5, v1, v6
	s_delay_alu instid0(VALU_DEP_2) | instskip(SKIP_1) | instid1(VALU_DEP_3)
	v_dual_add_f32 v1, v38, v41 :: v_dual_add_f32 v64, v0, v34
	v_add_f32_e32 v0, v7, v45
	v_fmamk_f32 v62, v61, 0xbf737871, v60
	s_delay_alu instid0(VALU_DEP_3) | instskip(NEXT) | instid1(VALU_DEP_3)
	v_dual_add_f32 v1, v1, v35 :: v_dual_fmac_f32 v60, 0x3f737871, v61
	v_add_f32_e32 v0, v0, v42
	s_delay_alu instid0(VALU_DEP_3) | instskip(NEXT) | instid1(VALU_DEP_3)
	v_fmac_f32_e32 v62, 0xbf167918, v63
	v_add_f32_e32 v1, v1, v31
	s_delay_alu instid0(VALU_DEP_4) | instskip(NEXT) | instid1(VALU_DEP_4)
	v_fmac_f32_e32 v60, 0x3f167918, v63
	v_add_f32_e32 v0, v0, v37
	s_delay_alu instid0(VALU_DEP_4) | instskip(NEXT) | instid1(VALU_DEP_4)
	v_fmac_f32_e32 v62, 0x3e9e377a, v8
	v_add_f32_e32 v70, v1, v24
	s_delay_alu instid0(VALU_DEP_4) | instskip(SKIP_1) | instid1(VALU_DEP_4)
	v_fmac_f32_e32 v60, 0x3e9e377a, v8
	v_mul_f32_e32 v8, 0xbf167918, v49
	v_dual_add_f32 v69, v0, v33 :: v_dual_add_f32 v4, v62, v58
	s_delay_alu instid0(VALU_DEP_4) | instskip(NEXT) | instid1(VALU_DEP_2)
	v_add_f32_e32 v0, v64, v70
	v_dual_fmac_f32 v8, 0xbf4f1bbd, v48 :: v_dual_add_f32 v1, v69, v71
	ds_store_2addr_b64 v231, v[0:1], v[4:5] offset1:30
	v_dual_add_f32 v4, v44, v34 :: v_dual_add_f32 v5, v45, v33
	v_sub_f32_e32 v0, v43, v44
	v_sub_f32_e32 v1, v39, v34
	;; [unrolled: 1-line block ×3, first 2 shown]
	s_delay_alu instid0(VALU_DEP_4) | instskip(SKIP_1) | instid1(VALU_DEP_4)
	v_fma_f32 v6, -0.5, v4, v6
	v_dual_fmac_f32 v7, -0.5, v5 :: v_dual_add_f32 v4, v41, v24
	v_add_f32_e32 v0, v0, v1
	s_delay_alu instid0(VALU_DEP_3) | instskip(SKIP_1) | instid1(VALU_DEP_4)
	v_dual_sub_f32 v1, v42, v45 :: v_dual_fmamk_f32 v34, v63, 0x3f737871, v6
	v_dual_fmac_f32 v6, 0xbf737871, v63 :: v_dual_sub_f32 v5, v31, v24
	v_fmamk_f32 v24, v68, 0xbf737871, v7
	v_fmac_f32_e32 v7, 0x3f737871, v68
	s_delay_alu instid0(VALU_DEP_4) | instskip(NEXT) | instid1(VALU_DEP_4)
	v_fmac_f32_e32 v34, 0xbf167918, v61
	v_fmac_f32_e32 v6, 0x3f167918, v61
	v_fmac_f32_e32 v38, -0.5, v4
	v_fmac_f32_e32 v24, 0x3f167918, v66
	v_fmac_f32_e32 v7, 0xbf167918, v66
	;; [unrolled: 1-line block ×4, first 2 shown]
	v_add_f32_e32 v0, v1, v33
	v_sub_f32_e32 v1, v35, v41
	v_dual_sub_f32 v4, v30, v25 :: v_dual_sub_f32 v33, v16, v12
	s_delay_alu instid0(VALU_DEP_3) | instskip(NEXT) | instid1(VALU_DEP_3)
	v_dual_sub_f32 v37, v29, v14 :: v_dual_fmac_f32 v24, 0x3e9e377a, v0
	v_dual_fmac_f32 v7, 0x3e9e377a, v0 :: v_dual_add_f32 v0, v1, v5
	v_add_f32_e32 v1, v36, v25
	v_fmamk_f32 v5, v57, 0x3f737871, v38
	v_fmac_f32_e32 v38, 0xbf737871, v57
	v_dual_sub_f32 v42, v28, v15 :: v_dual_sub_f32 v39, v26, v18
	s_delay_alu instid0(VALU_DEP_4) | instskip(NEXT) | instid1(VALU_DEP_4)
	v_dual_fmac_f32 v40, -0.5, v1 :: v_dual_sub_f32 v1, v32, v36
	v_fmac_f32_e32 v5, 0xbf167918, v56
	s_delay_alu instid0(VALU_DEP_4) | instskip(NEXT) | instid1(VALU_DEP_2)
	v_fmac_f32_e32 v38, 0x3f167918, v56
	v_dual_sub_f32 v44, v27, v19 :: v_dual_fmac_f32 v5, 0x3e9e377a, v0
	s_delay_alu instid0(VALU_DEP_2) | instskip(SKIP_2) | instid1(VALU_DEP_2)
	v_fmac_f32_e32 v38, 0x3e9e377a, v0
	v_dual_add_f32 v0, v1, v4 :: v_dual_fmamk_f32 v1, v51, 0xbf737871, v40
	v_fmac_f32_e32 v40, 0x3f737871, v51
	v_fmac_f32_e32 v1, 0x3f167918, v50
	s_delay_alu instid0(VALU_DEP_2) | instskip(NEXT) | instid1(VALU_DEP_2)
	v_fmac_f32_e32 v40, 0xbf167918, v50
	v_fmac_f32_e32 v1, 0x3e9e377a, v0
	s_delay_alu instid0(VALU_DEP_2) | instskip(NEXT) | instid1(VALU_DEP_2)
	v_fmac_f32_e32 v40, 0x3e9e377a, v0
	v_mul_f32_e32 v25, 0xbf737871, v1
	v_mul_f32_e32 v30, 0x3e9e377a, v1
	s_delay_alu instid0(VALU_DEP_3) | instskip(SKIP_1) | instid1(VALU_DEP_4)
	v_mul_f32_e32 v31, 0xbf737871, v40
	v_mul_f32_e32 v32, 0xbe9e377a, v40
	v_fmac_f32_e32 v25, 0x3e9e377a, v5
	s_delay_alu instid0(VALU_DEP_4) | instskip(NEXT) | instid1(VALU_DEP_4)
	v_fmac_f32_e32 v30, 0x3f737871, v5
	v_fmac_f32_e32 v31, 0xbe9e377a, v38
	s_delay_alu instid0(VALU_DEP_4) | instskip(NEXT) | instid1(VALU_DEP_3)
	v_fmac_f32_e32 v32, 0x3f737871, v38
	v_dual_add_f32 v0, v34, v25 :: v_dual_add_f32 v1, v24, v30
	s_delay_alu instid0(VALU_DEP_2)
	v_dual_add_f32 v4, v6, v31 :: v_dual_add_f32 v5, v7, v32
	ds_store_2addr_b64 v231, v[0:1], v[4:5] offset0:60 offset1:90
	v_dual_sub_f32 v0, v64, v70 :: v_dual_sub_f32 v1, v69, v71
	v_dual_add_f32 v4, v60, v8 :: v_dual_add_f32 v5, v65, v9
	ds_store_2addr_b64 v231, v[4:5], v[0:1] offset0:120 offset1:150
	v_dual_sub_f32 v0, v62, v58 :: v_dual_sub_f32 v1, v67, v59
	v_dual_sub_f32 v4, v34, v25 :: v_dual_sub_f32 v5, v24, v30
	v_sub_f32_e32 v30, v23, v10
	ds_store_2addr_b64 v231, v[0:1], v[4:5] offset0:180 offset1:210
	v_sub_f32_e32 v0, v6, v31
	scratch_load_b32 v6, off, off offset:296 th:TH_LOAD_LU ; 4-byte Folded Reload
	v_sub_f32_e32 v1, v7, v32
	v_dual_sub_f32 v4, v60, v8 :: v_dual_sub_f32 v5, v65, v9
	v_dual_sub_f32 v31, v17, v13 :: v_dual_sub_f32 v32, v20, v11
	s_wait_loadcnt 0x0
	ds_store_2addr_b64 v6, v[0:1], v[4:5] offset0:112 offset1:142
	v_sub_f32_e32 v0, v28, v27
	v_sub_f32_e32 v1, v15, v19
	v_add_f32_e32 v5, v26, v18
	v_add_f32_e32 v4, v22, v20
	s_delay_alu instid0(VALU_DEP_3) | instskip(SKIP_4) | instid1(VALU_DEP_3)
	v_add_f32_e32 v6, v0, v1
	v_sub_f32_e32 v0, v29, v26
	v_sub_f32_e32 v1, v14, v18
	v_fma_f32 v41, -0.5, v5, v3
	v_add_f32_e32 v4, v4, v16
	v_add_f32_e32 v7, v0, v1
	v_sub_f32_e32 v0, v23, v17
	v_sub_f32_e32 v1, v10, v13
	s_delay_alu instid0(VALU_DEP_4) | instskip(NEXT) | instid1(VALU_DEP_2)
	v_dual_fmamk_f32 v43, v42, 0x3f737871, v41 :: v_dual_add_f32 v4, v4, v12
	v_dual_fmac_f32 v41, 0xbf737871, v42 :: v_dual_add_f32 v8, v0, v1
	v_sub_f32_e32 v0, v20, v16
	v_sub_f32_e32 v1, v11, v12
	s_delay_alu instid0(VALU_DEP_4) | instskip(SKIP_2) | instid1(VALU_DEP_4)
	v_fmac_f32_e32 v43, 0x3f167918, v44
	v_add_f32_e32 v47, v4, v11
	v_fmac_f32_e32 v41, 0xbf167918, v44
	v_add_f32_e32 v9, v0, v1
	s_delay_alu instid0(VALU_DEP_4) | instskip(NEXT) | instid1(VALU_DEP_3)
	v_dual_add_f32 v0, v17, v13 :: v_dual_fmac_f32 v43, 0x3e9e377a, v7
	v_fmac_f32_e32 v41, 0x3e9e377a, v7
	s_delay_alu instid0(VALU_DEP_2) | instskip(SKIP_1) | instid1(VALU_DEP_2)
	v_fma_f32 v24, -0.5, v0, v21
	v_add_f32_e32 v0, v16, v12
	v_fmamk_f32 v1, v32, 0xbf737871, v24
	s_delay_alu instid0(VALU_DEP_2) | instskip(SKIP_1) | instid1(VALU_DEP_3)
	v_fma_f32 v25, -0.5, v0, v22
	v_fmac_f32_e32 v24, 0x3f737871, v32
	v_fmac_f32_e32 v1, 0xbf167918, v33
	s_delay_alu instid0(VALU_DEP_3) | instskip(SKIP_1) | instid1(VALU_DEP_4)
	v_fmamk_f32 v0, v30, 0x3f737871, v25
	v_fmac_f32_e32 v25, 0xbf737871, v30
	v_fmac_f32_e32 v24, 0x3f167918, v33
	s_delay_alu instid0(VALU_DEP_4) | instskip(NEXT) | instid1(VALU_DEP_4)
	v_fmac_f32_e32 v1, 0x3e9e377a, v8
	v_fmac_f32_e32 v0, 0x3f167918, v31
	s_delay_alu instid0(VALU_DEP_4) | instskip(NEXT) | instid1(VALU_DEP_4)
	v_fmac_f32_e32 v25, 0xbf167918, v31
	v_fmac_f32_e32 v24, 0x3e9e377a, v8
	s_delay_alu instid0(VALU_DEP_3) | instskip(NEXT) | instid1(VALU_DEP_3)
	v_fmac_f32_e32 v0, 0x3e9e377a, v9
	v_fmac_f32_e32 v25, 0x3e9e377a, v9
	s_delay_alu instid0(VALU_DEP_2) | instskip(SKIP_1) | instid1(VALU_DEP_3)
	v_mul_f32_e32 v34, 0xbf167918, v0
	v_mul_f32_e32 v35, 0x3f4f1bbd, v0
	v_dual_add_f32 v0, v2, v28 :: v_dual_mul_f32 v7, 0xbf4f1bbd, v25
	s_delay_alu instid0(VALU_DEP_3) | instskip(NEXT) | instid1(VALU_DEP_2)
	v_fmac_f32_e32 v34, 0x3f4f1bbd, v1
	v_dual_fmac_f32 v35, 0x3f167918, v1 :: v_dual_add_f32 v0, v0, v27
	v_add_f32_e32 v1, v27, v19
	s_delay_alu instid0(VALU_DEP_4) | instskip(NEXT) | instid1(VALU_DEP_3)
	v_fmac_f32_e32 v7, 0x3f167918, v24
	v_add_f32_e32 v5, v43, v35
	s_delay_alu instid0(VALU_DEP_4) | instskip(NEXT) | instid1(VALU_DEP_4)
	v_add_f32_e32 v0, v0, v19
	v_fma_f32 v36, -0.5, v1, v2
	v_add_f32_e32 v1, v21, v23
	s_delay_alu instid0(VALU_DEP_3) | instskip(SKIP_1) | instid1(VALU_DEP_4)
	v_add_f32_e32 v40, v0, v15
	v_add_f32_e32 v0, v3, v29
	v_fmamk_f32 v38, v37, 0xbf737871, v36
	s_delay_alu instid0(VALU_DEP_4) | instskip(SKIP_1) | instid1(VALU_DEP_4)
	v_add_f32_e32 v1, v1, v17
	v_fmac_f32_e32 v36, 0x3f737871, v37
	v_add_f32_e32 v0, v0, v26
	s_delay_alu instid0(VALU_DEP_3) | instskip(NEXT) | instid1(VALU_DEP_3)
	v_dual_fmac_f32 v38, 0xbf167918, v39 :: v_dual_add_f32 v1, v1, v13
	v_fmac_f32_e32 v36, 0x3f167918, v39
	s_delay_alu instid0(VALU_DEP_3) | instskip(NEXT) | instid1(VALU_DEP_3)
	v_add_f32_e32 v0, v0, v18
	v_fmac_f32_e32 v38, 0x3e9e377a, v6
	s_delay_alu instid0(VALU_DEP_4) | instskip(NEXT) | instid1(VALU_DEP_4)
	v_add_f32_e32 v46, v1, v10
	v_fmac_f32_e32 v36, 0x3e9e377a, v6
	s_delay_alu instid0(VALU_DEP_4) | instskip(NEXT) | instid1(VALU_DEP_4)
	v_dual_mul_f32 v6, 0xbf167918, v25 :: v_dual_add_f32 v45, v0, v14
	v_add_f32_e32 v4, v38, v34
	s_delay_alu instid0(VALU_DEP_4) | instskip(NEXT) | instid1(VALU_DEP_3)
	v_add_f32_e32 v0, v40, v46
	v_dual_fmac_f32 v6, 0xbf4f1bbd, v24 :: v_dual_add_f32 v1, v45, v47
	ds_store_2addr_b64 v229, v[0:1], v[4:5] offset1:30
	v_add_f32_e32 v4, v28, v15
	v_sub_f32_e32 v1, v19, v15
	v_add_f32_e32 v5, v29, v14
	v_sub_f32_e32 v14, v18, v14
	s_delay_alu instid0(VALU_DEP_4) | instskip(NEXT) | instid1(VALU_DEP_3)
	v_fma_f32 v2, -0.5, v4, v2
	v_dual_add_f32 v4, v23, v10 :: v_dual_fmac_f32 v3, -0.5, v5
	v_sub_f32_e32 v5, v13, v10
	s_delay_alu instid0(VALU_DEP_3) | instskip(SKIP_1) | instid1(VALU_DEP_4)
	v_fmamk_f32 v15, v39, 0x3f737871, v2
	v_fmac_f32_e32 v2, 0xbf737871, v39
	v_fmamk_f32 v10, v44, 0xbf737871, v3
	v_fmac_f32_e32 v3, 0x3f737871, v44
	v_fmac_f32_e32 v21, -0.5, v4
	v_dual_fmac_f32 v15, 0xbf167918, v37 :: v_dual_sub_f32 v0, v27, v28
	v_fmac_f32_e32 v2, 0x3f167918, v37
	v_fmac_f32_e32 v10, 0x3f167918, v42
	v_dual_fmac_f32 v3, 0xbf167918, v42 :: v_dual_sub_f32 v4, v12, v11
	s_delay_alu instid0(VALU_DEP_4) | instskip(SKIP_1) | instid1(VALU_DEP_2)
	v_add_f32_e32 v0, v0, v1
	v_sub_f32_e32 v1, v26, v29
	v_fmac_f32_e32 v15, 0x3e9e377a, v0
	v_fmac_f32_e32 v2, 0x3e9e377a, v0
	s_delay_alu instid0(VALU_DEP_3) | instskip(NEXT) | instid1(VALU_DEP_1)
	v_add_f32_e32 v0, v1, v14
	v_dual_sub_f32 v1, v17, v23 :: v_dual_fmac_f32 v10, 0x3e9e377a, v0
	s_delay_alu instid0(VALU_DEP_1) | instskip(SKIP_3) | instid1(VALU_DEP_3)
	v_dual_fmac_f32 v3, 0x3e9e377a, v0 :: v_dual_add_f32 v0, v1, v5
	v_add_f32_e32 v1, v20, v11
	v_fmamk_f32 v5, v33, 0x3f737871, v21
	v_fmac_f32_e32 v21, 0xbf737871, v33
	v_dual_fmac_f32 v22, -0.5, v1 :: v_dual_sub_f32 v1, v16, v20
	s_delay_alu instid0(VALU_DEP_3) | instskip(NEXT) | instid1(VALU_DEP_3)
	v_fmac_f32_e32 v5, 0xbf167918, v32
	v_fmac_f32_e32 v21, 0x3f167918, v32
	s_delay_alu instid0(VALU_DEP_2) | instskip(NEXT) | instid1(VALU_DEP_2)
	v_fmac_f32_e32 v5, 0x3e9e377a, v0
	v_fmac_f32_e32 v21, 0x3e9e377a, v0
	v_dual_add_f32 v0, v1, v4 :: v_dual_fmamk_f32 v1, v31, 0xbf737871, v22
	v_fmac_f32_e32 v22, 0x3f737871, v31
	s_delay_alu instid0(VALU_DEP_2) | instskip(NEXT) | instid1(VALU_DEP_2)
	v_fmac_f32_e32 v1, 0x3f167918, v30
	v_fmac_f32_e32 v22, 0xbf167918, v30
	s_delay_alu instid0(VALU_DEP_2) | instskip(NEXT) | instid1(VALU_DEP_2)
	v_fmac_f32_e32 v1, 0x3e9e377a, v0
	v_fmac_f32_e32 v22, 0x3e9e377a, v0
	s_delay_alu instid0(VALU_DEP_2) | instskip(SKIP_1) | instid1(VALU_DEP_3)
	v_mul_f32_e32 v11, 0xbf737871, v1
	v_mul_f32_e32 v12, 0x3e9e377a, v1
	;; [unrolled: 1-line block ×4, first 2 shown]
	s_delay_alu instid0(VALU_DEP_4) | instskip(NEXT) | instid1(VALU_DEP_4)
	v_fmac_f32_e32 v11, 0x3e9e377a, v5
	v_fmac_f32_e32 v12, 0x3f737871, v5
	s_delay_alu instid0(VALU_DEP_4) | instskip(NEXT) | instid1(VALU_DEP_4)
	v_fmac_f32_e32 v13, 0xbe9e377a, v21
	v_fmac_f32_e32 v14, 0x3f737871, v21
	s_delay_alu instid0(VALU_DEP_3) | instskip(NEXT) | instid1(VALU_DEP_2)
	v_dual_add_f32 v0, v15, v11 :: v_dual_add_f32 v1, v10, v12
	v_dual_add_f32 v4, v2, v13 :: v_dual_add_f32 v5, v3, v14
	ds_store_2addr_b64 v229, v[0:1], v[4:5] offset0:60 offset1:90
	v_dual_sub_f32 v0, v40, v46 :: v_dual_sub_f32 v1, v45, v47
	v_dual_add_f32 v4, v36, v6 :: v_dual_add_f32 v5, v41, v7
	ds_store_2addr_b64 v229, v[4:5], v[0:1] offset0:120 offset1:150
	v_dual_sub_f32 v0, v38, v34 :: v_dual_sub_f32 v1, v43, v35
	v_dual_sub_f32 v4, v15, v11 :: v_dual_sub_f32 v5, v10, v12
	ds_store_2addr_b64 v229, v[0:1], v[4:5] offset0:180 offset1:210
	scratch_load_b32 v4, off, off offset:300 th:TH_LOAD_LU ; 4-byte Folded Reload
	v_dual_sub_f32 v1, v3, v14 :: v_dual_sub_f32 v0, v2, v13
	v_dual_sub_f32 v2, v36, v6 :: v_dual_sub_f32 v3, v41, v7
	s_wait_loadcnt 0x0
	ds_store_2addr_b64 v4, v[0:1], v[2:3] offset0:112 offset1:142
	global_wb scope:SCOPE_SE
	s_wait_dscnt 0x0
	s_barrier_signal -1
	s_barrier_wait -1
	global_inv scope:SCOPE_SE
	ds_load_2addr_b64 v[0:3], v189 offset0:112 offset1:212
	s_wait_dscnt 0x0
	v_mul_f32_e32 v28, v244, v1
	v_mul_f32_e32 v24, v242, v3
	s_delay_alu instid0(VALU_DEP_2) | instskip(SKIP_1) | instid1(VALU_DEP_3)
	v_fmac_f32_e32 v28, v243, v0
	v_mul_f32_e32 v0, v244, v0
	v_fmac_f32_e32 v24, v241, v2
	s_delay_alu instid0(VALU_DEP_2) | instskip(SKIP_1) | instid1(VALU_DEP_1)
	v_fma_f32 v31, v243, v1, -v0
	v_mul_f32_e32 v0, v242, v2
	v_fma_f32 v25, v241, v3, -v0
	ds_load_2addr_b64 v[0:3], v232 offset0:40 offset1:140
	s_wait_dscnt 0x0
	v_mul_f32_e32 v14, v240, v3
	v_mul_f32_e32 v26, v135, v1
	s_delay_alu instid0(VALU_DEP_2) | instskip(SKIP_1) | instid1(VALU_DEP_3)
	v_fmac_f32_e32 v14, v239, v2
	v_mul_f32_e32 v2, v240, v2
	v_fmac_f32_e32 v26, v134, v0
	v_mul_f32_e32 v0, v135, v0
	s_delay_alu instid0(VALU_DEP_3) | instskip(NEXT) | instid1(VALU_DEP_2)
	v_fma_f32 v15, v239, v3, -v2
	v_fma_f32 v27, v134, v1, -v0
	ds_load_2addr_b64 v[0:3], v156 offset0:152 offset1:252
	s_wait_dscnt 0x0
	v_mul_f32_e32 v29, v133, v3
	s_delay_alu instid0(VALU_DEP_1) | instskip(SKIP_1) | instid1(VALU_DEP_2)
	v_dual_mul_f32 v38, v125, v1 :: v_dual_fmac_f32 v29, v132, v2
	v_mul_f32_e32 v2, v133, v2
	v_fmac_f32_e32 v38, v124, v0
	v_mul_f32_e32 v0, v125, v0
	s_delay_alu instid0(VALU_DEP_3) | instskip(NEXT) | instid1(VALU_DEP_2)
	v_fma_f32 v30, v132, v3, -v2
	v_fma_f32 v39, v124, v1, -v0
	ds_load_2addr_b64 v[0:3], v199 offset0:96 offset1:196
	s_wait_dscnt 0x0
	v_mul_f32_e32 v40, v127, v3
	v_mul_f32_e32 v16, v119, v1
	s_delay_alu instid0(VALU_DEP_2) | instskip(SKIP_1) | instid1(VALU_DEP_3)
	v_fmac_f32_e32 v40, v126, v2
	v_mul_f32_e32 v2, v127, v2
	v_fmac_f32_e32 v16, v118, v0
	v_mul_f32_e32 v0, v119, v0
	s_delay_alu instid0(VALU_DEP_3) | instskip(NEXT) | instid1(VALU_DEP_2)
	v_fma_f32 v42, v126, v3, -v2
	v_fma_f32 v17, v118, v1, -v0
	ds_load_2addr_b64 v[0:3], v245 offset0:80 offset1:180
	s_wait_dscnt 0x0
	v_mul_f32_e32 v18, v117, v3
	v_mul_f32_e32 v32, v131, v1
	s_delay_alu instid0(VALU_DEP_2) | instskip(SKIP_1) | instid1(VALU_DEP_3)
	v_fmac_f32_e32 v18, v116, v2
	;; [unrolled: 12-line block ×3, first 2 shown]
	v_mul_f32_e32 v2, v129, v2
	v_fmac_f32_e32 v46, v112, v0
	v_mul_f32_e32 v0, v113, v0
	s_delay_alu instid0(VALU_DEP_3) | instskip(NEXT) | instid1(VALU_DEP_2)
	v_fma_f32 v35, v128, v3, -v2
	v_fma_f32 v47, v112, v1, -v0
	ds_load_2addr_b64 v[0:3], v161 offset0:8 offset1:108
	s_wait_dscnt 0x0
	v_mul_f32_e32 v45, v115, v3
	s_delay_alu instid0(VALU_DEP_1) | instskip(SKIP_1) | instid1(VALU_DEP_2)
	v_dual_mul_f32 v20, v107, v1 :: v_dual_fmac_f32 v45, v114, v2
	v_mul_f32_e32 v2, v115, v2
	v_fmac_f32_e32 v20, v106, v0
	v_mul_f32_e32 v0, v107, v0
	s_delay_alu instid0(VALU_DEP_3) | instskip(NEXT) | instid1(VALU_DEP_2)
	v_fma_f32 v48, v114, v3, -v2
	v_fma_f32 v21, v106, v1, -v0
	ds_load_2addr_b64 v[0:3], v247 offset0:120 offset1:220
	s_wait_dscnt 0x0
	v_mul_f32_e32 v22, v105, v3
	v_mul_f32_e32 v36, v123, v1
	s_delay_alu instid0(VALU_DEP_2) | instskip(SKIP_1) | instid1(VALU_DEP_3)
	v_fmac_f32_e32 v22, v104, v2
	v_mul_f32_e32 v2, v105, v2
	v_fmac_f32_e32 v36, v122, v0
	s_delay_alu instid0(VALU_DEP_3) | instskip(NEXT) | instid1(VALU_DEP_3)
	v_dual_mul_f32 v0, v123, v0 :: v_dual_sub_f32 v75, v22, v18
	v_fma_f32 v23, v104, v3, -v2
	s_delay_alu instid0(VALU_DEP_3) | instskip(NEXT) | instid1(VALU_DEP_3)
	v_sub_f32_e32 v88, v36, v32
	v_fma_f32 v37, v122, v1, -v0
	ds_load_2addr_b64 v[0:3], v193 offset0:104 offset1:204
	v_sub_f32_e32 v77, v23, v19
	s_wait_dscnt 0x0
	v_mul_f32_e32 v43, v121, v3
	v_mul_f32_e32 v51, v101, v1
	s_delay_alu instid0(VALU_DEP_2) | instskip(NEXT) | instid1(VALU_DEP_2)
	v_fmac_f32_e32 v43, v120, v2
	v_dual_mul_f32 v2, v121, v2 :: v_dual_fmac_f32 v51, v100, v0
	v_mul_f32_e32 v0, v101, v0
	s_delay_alu instid0(VALU_DEP_2) | instskip(NEXT) | instid1(VALU_DEP_2)
	v_fma_f32 v44, v120, v3, -v2
	v_fma_f32 v56, v100, v1, -v0
	ds_load_2addr_b64 v[0:3], v159 offset0:48 offset1:148
	s_wait_dscnt 0x0
	v_mul_f32_e32 v50, v103, v3
	v_mul_f32_e32 v64, v83, v1
	s_delay_alu instid0(VALU_DEP_2) | instskip(SKIP_1) | instid1(VALU_DEP_3)
	v_fmac_f32_e32 v50, v102, v2
	v_mul_f32_e32 v2, v103, v2
	v_fmac_f32_e32 v64, v82, v0
	v_mul_f32_e32 v0, v83, v0
	s_delay_alu instid0(VALU_DEP_3) | instskip(NEXT) | instid1(VALU_DEP_3)
	v_fma_f32 v57, v102, v3, -v2
	v_sub_f32_e32 v85, v64, v20
	s_delay_alu instid0(VALU_DEP_3) | instskip(SKIP_4) | instid1(VALU_DEP_1)
	v_fma_f32 v65, v82, v1, -v0
	ds_load_2addr_b64 v[0:3], v250 offset0:32 offset1:132
	v_sub_f32_e32 v82, v65, v21
	s_wait_dscnt 0x0
	v_dual_mul_f32 v66, v81, v3 :: v_dual_mul_f32 v41, v111, v1
	v_fmac_f32_e32 v66, v80, v2
	s_delay_alu instid0(VALU_DEP_2) | instskip(SKIP_1) | instid1(VALU_DEP_3)
	v_dual_mul_f32 v2, v81, v2 :: v_dual_fmac_f32 v41, v110, v0
	v_mul_f32_e32 v0, v111, v0
	v_sub_f32_e32 v74, v66, v14
	s_delay_alu instid0(VALU_DEP_3) | instskip(NEXT) | instid1(VALU_DEP_4)
	v_fma_f32 v67, v80, v3, -v2
	v_sub_f32_e32 v89, v41, v26
	s_delay_alu instid0(VALU_DEP_4)
	v_fma_f32 v49, v110, v1, -v0
	ds_load_2addr_b64 v[0:3], v195 offset0:144 offset1:244
	v_sub_f32_e32 v76, v67, v15
	v_sub_f32_e32 v86, v49, v27
	s_wait_dscnt 0x0
	v_mul_f32_e32 v60, v109, v3
	v_mul_f32_e32 v62, v97, v1
	s_delay_alu instid0(VALU_DEP_2) | instskip(SKIP_1) | instid1(VALU_DEP_3)
	v_fmac_f32_e32 v60, v108, v2
	v_mul_f32_e32 v2, v109, v2
	v_fmac_f32_e32 v62, v96, v0
	v_mul_f32_e32 v0, v97, v0
	s_delay_alu instid0(VALU_DEP_3) | instskip(NEXT) | instid1(VALU_DEP_2)
	v_fma_f32 v61, v108, v3, -v2
	v_fma_f32 v63, v96, v1, -v0
	ds_load_2addr_b64 v[0:3], v211 offset0:88 offset1:188
	s_wait_dscnt 0x0
	v_mul_f32_e32 v58, v99, v3
	v_mul_f32_e32 v68, v55, v1
	s_delay_alu instid0(VALU_DEP_2) | instskip(SKIP_1) | instid1(VALU_DEP_3)
	v_fmac_f32_e32 v58, v98, v2
	v_mul_f32_e32 v2, v99, v2
	v_fmac_f32_e32 v68, v54, v0
	v_mul_f32_e32 v0, v55, v0
	s_delay_alu instid0(VALU_DEP_3) | instskip(NEXT) | instid1(VALU_DEP_3)
	v_fma_f32 v59, v98, v3, -v2
	v_sub_f32_e32 v84, v68, v16
	s_delay_alu instid0(VALU_DEP_3) | instskip(SKIP_4) | instid1(VALU_DEP_1)
	v_fma_f32 v54, v54, v1, -v0
	ds_load_2addr_b64 v[0:3], v248 offset0:72 offset1:172
	v_sub_f32_e32 v81, v54, v17
	s_wait_dscnt 0x0
	v_mul_f32_e32 v55, v53, v3
	v_fmac_f32_e32 v55, v52, v2
	v_mul_f32_e32 v2, v53, v2
	s_delay_alu instid0(VALU_DEP_2) | instskip(NEXT) | instid1(VALU_DEP_2)
	v_add_f32_e32 v8, v55, v66
	v_fma_f32 v52, v52, v3, -v2
	ds_load_2addr_b64 v[2:5], v246 offset1:100
	v_add_f32_e32 v8, v8, v22
	v_add_f32_e32 v9, v52, v67
	s_delay_alu instid0(VALU_DEP_1) | instskip(NEXT) | instid1(VALU_DEP_1)
	v_dual_add_f32 v8, v8, v18 :: v_dual_add_f32 v9, v9, v23
	v_dual_add_f32 v8, v8, v14 :: v_dual_add_f32 v9, v9, v19
	s_wait_dscnt 0x0
	s_delay_alu instid0(VALU_DEP_1) | instskip(NEXT) | instid1(VALU_DEP_1)
	v_dual_add_f32 v9, v9, v15 :: v_dual_add_f32 v6, v2, v68
	v_dual_add_f32 v7, v3, v54 :: v_dual_add_f32 v6, v6, v64
	s_delay_alu instid0(VALU_DEP_1) | instskip(NEXT) | instid1(VALU_DEP_1)
	v_dual_add_f32 v7, v7, v65 :: v_dual_add_f32 v6, v6, v20
	v_dual_add_f32 v7, v7, v21 :: v_dual_add_f32 v10, v6, v16
	s_delay_alu instid0(VALU_DEP_1) | instskip(NEXT) | instid1(VALU_DEP_1)
	v_dual_add_f32 v11, v7, v17 :: v_dual_add_f32 v6, v10, v8
	v_dual_add_f32 v7, v11, v9 :: v_dual_sub_f32 v8, v10, v8
	v_dual_sub_f32 v9, v11, v9 :: v_dual_sub_f32 v10, v68, v64
	v_sub_f32_e32 v11, v16, v20
	s_delay_alu instid0(VALU_DEP_1) | instskip(SKIP_2) | instid1(VALU_DEP_1)
	v_add_f32_e32 v53, v10, v11
	v_sub_f32_e32 v10, v54, v65
	v_sub_f32_e32 v11, v17, v21
	v_add_f32_e32 v69, v10, v11
	v_sub_f32_e32 v10, v66, v22
	v_sub_f32_e32 v11, v14, v18
	s_delay_alu instid0(VALU_DEP_1) | instskip(SKIP_2) | instid1(VALU_DEP_1)
	v_add_f32_e32 v70, v10, v11
	v_sub_f32_e32 v10, v67, v23
	v_sub_f32_e32 v11, v15, v19
	v_add_f32_e32 v71, v10, v11
	v_add_f32_e32 v10, v22, v18
	s_delay_alu instid0(VALU_DEP_1) | instskip(NEXT) | instid1(VALU_DEP_1)
	v_fma_f32 v72, -0.5, v10, v55
	v_dual_add_f32 v10, v23, v19 :: v_dual_fmamk_f32 v11, v76, 0xbf737871, v72
	s_delay_alu instid0(VALU_DEP_1) | instskip(SKIP_1) | instid1(VALU_DEP_3)
	v_fma_f32 v73, -0.5, v10, v52
	v_fmac_f32_e32 v72, 0x3f737871, v76
	v_fmac_f32_e32 v11, 0xbf167918, v77
	s_delay_alu instid0(VALU_DEP_3) | instskip(SKIP_1) | instid1(VALU_DEP_4)
	v_fmamk_f32 v10, v74, 0x3f737871, v73
	v_fmac_f32_e32 v73, 0xbf737871, v74
	v_fmac_f32_e32 v72, 0x3f167918, v77
	s_delay_alu instid0(VALU_DEP_4) | instskip(NEXT) | instid1(VALU_DEP_4)
	v_fmac_f32_e32 v11, 0x3e9e377a, v70
	v_fmac_f32_e32 v10, 0x3f167918, v75
	s_delay_alu instid0(VALU_DEP_4) | instskip(NEXT) | instid1(VALU_DEP_4)
	v_fmac_f32_e32 v73, 0xbf167918, v75
	v_fmac_f32_e32 v72, 0x3e9e377a, v70
	s_delay_alu instid0(VALU_DEP_3) | instskip(NEXT) | instid1(VALU_DEP_3)
	v_fmac_f32_e32 v10, 0x3e9e377a, v71
	v_fmac_f32_e32 v73, 0x3e9e377a, v71
	s_delay_alu instid0(VALU_DEP_2) | instskip(SKIP_3) | instid1(VALU_DEP_4)
	v_dual_sub_f32 v71, v34, v29 :: v_dual_mul_f32 v78, 0xbf167918, v10
	v_dual_mul_f32 v79, 0x3f4f1bbd, v10 :: v_dual_add_f32 v10, v64, v20
	v_sub_f32_e32 v64, v64, v68
	v_sub_f32_e32 v20, v20, v16
	v_fmac_f32_e32 v78, 0x3f4f1bbd, v11
	s_delay_alu instid0(VALU_DEP_4) | instskip(SKIP_1) | instid1(VALU_DEP_4)
	v_fmac_f32_e32 v79, 0x3f167918, v11
	v_dual_add_f32 v11, v65, v21 :: v_dual_add_f32 v16, v68, v16
	v_add_f32_e32 v20, v64, v20
	v_sub_f32_e32 v64, v65, v54
	v_add_f32_e32 v54, v54, v17
	v_sub_f32_e32 v17, v21, v17
	v_sub_f32_e32 v21, v22, v66
	v_add_f32_e32 v22, v66, v14
	v_sub_f32_e32 v14, v18, v14
	;; [unrolled: 3-line block ×3, first 2 shown]
	v_fmac_f32_e32 v55, -0.5, v22
	v_add_f32_e32 v19, v21, v14
	v_fma_f32 v16, -0.5, v16, v2
	v_fmac_f32_e32 v52, -0.5, v23
	v_fma_f32 v23, -0.5, v54, v3
	v_fma_f32 v80, -0.5, v10, v2
	;; [unrolled: 1-line block ×3, first 2 shown]
	v_add_f32_e32 v18, v18, v15
	v_fmamk_f32 v14, v75, 0xbf737871, v52
	v_dual_fmac_f32 v52, 0x3f737871, v75 :: v_dual_fmamk_f32 v15, v77, 0x3f737871, v55
	v_fmamk_f32 v2, v82, 0x3f737871, v16
	v_fmamk_f32 v3, v85, 0xbf737871, v23
	s_delay_alu instid0(VALU_DEP_4)
	v_fmac_f32_e32 v14, 0x3f167918, v74
	v_fmac_f32_e32 v16, 0xbf737871, v82
	;; [unrolled: 1-line block ×5, first 2 shown]
	v_add_f32_e32 v17, v64, v17
	v_fmac_f32_e32 v15, 0xbf167918, v76
	v_fmac_f32_e32 v14, 0x3e9e377a, v18
	;; [unrolled: 1-line block ×3, first 2 shown]
	v_dual_fmac_f32 v3, 0x3f167918, v84 :: v_dual_fmac_f32 v16, 0x3f167918, v81
	v_fmac_f32_e32 v23, 0xbf167918, v84
	v_fmac_f32_e32 v52, 0x3e9e377a, v18
	;; [unrolled: 1-line block ×4, first 2 shown]
	v_mul_f32_e32 v21, 0xbf737871, v14
	v_dual_fmac_f32 v2, 0x3e9e377a, v20 :: v_dual_fmac_f32 v3, 0x3e9e377a, v17
	v_dual_fmac_f32 v16, 0x3e9e377a, v20 :: v_dual_fmac_f32 v23, 0x3e9e377a, v17
	v_fmac_f32_e32 v55, 0x3e9e377a, v19
	v_mul_f32_e32 v17, 0xbf737871, v52
	v_mul_f32_e32 v20, 0xbe9e377a, v52
	v_fmamk_f32 v10, v81, 0xbf737871, v80
	v_fmamk_f32 v11, v84, 0x3f737871, v83
	v_fmac_f32_e32 v21, 0x3e9e377a, v15
	v_fmac_f32_e32 v17, 0xbe9e377a, v55
	;; [unrolled: 1-line block ×7, first 2 shown]
	v_mul_f32_e32 v22, 0x3e9e377a, v14
	v_add_f32_e32 v14, v2, v21
	v_sub_f32_e32 v2, v2, v21
	v_dual_add_f32 v18, v16, v17 :: v_dual_add_f32 v19, v23, v20
	v_dual_sub_f32 v16, v16, v17 :: v_dual_sub_f32 v17, v23, v20
	v_fmac_f32_e32 v80, 0x3f167918, v82
	v_fmac_f32_e32 v83, 0xbf167918, v85
	v_mul_f32_e32 v20, 0xbf167918, v73
	v_mul_f32_e32 v21, 0xbf4f1bbd, v73
	v_fmac_f32_e32 v10, 0x3e9e377a, v53
	v_fmac_f32_e32 v11, 0x3e9e377a, v69
	;; [unrolled: 1-line block ×6, first 2 shown]
	v_dual_fmac_f32 v21, 0x3f167918, v72 :: v_dual_add_f32 v12, v10, v78
	v_add_f32_e32 v13, v11, v79
	v_add_f32_e32 v15, v3, v22
	s_delay_alu instid0(VALU_DEP_4) | instskip(NEXT) | instid1(VALU_DEP_4)
	v_dual_sub_f32 v3, v3, v22 :: v_dual_add_f32 v22, v80, v20
	v_dual_add_f32 v23, v83, v21 :: v_dual_sub_f32 v10, v10, v78
	v_dual_sub_f32 v11, v11, v79 :: v_dual_sub_f32 v20, v80, v20
	v_sub_f32_e32 v21, v83, v21
	ds_store_b64 v246, v[12:13] offset:2400
	ds_store_b64 v246, v[14:15] offset:4800
	;; [unrolled: 1-line block ×9, first 2 shown]
	v_dual_add_f32 v2, v4, v58 :: v_dual_add_f32 v3, v5, v59
	v_dual_add_f32 v8, v62, v51 :: v_dual_add_f32 v9, v63, v56
	v_sub_f32_e32 v19, v46, v38
	s_delay_alu instid0(VALU_DEP_3) | instskip(NEXT) | instid1(VALU_DEP_3)
	v_dual_add_f32 v2, v2, v50 :: v_dual_add_f32 v3, v3, v57
	v_dual_add_f32 v8, v8, v46 :: v_dual_add_f32 v9, v9, v47
	v_sub_f32_e32 v20, v51, v28
	s_delay_alu instid0(VALU_DEP_3) | instskip(NEXT) | instid1(VALU_DEP_3)
	v_dual_add_f32 v2, v2, v45 :: v_dual_add_f32 v3, v3, v48
	v_dual_add_f32 v8, v8, v38 :: v_dual_add_f32 v9, v9, v39
	s_delay_alu instid0(VALU_DEP_2) | instskip(NEXT) | instid1(VALU_DEP_2)
	v_dual_sub_f32 v21, v47, v39 :: v_dual_add_f32 v10, v2, v40
	v_dual_add_f32 v11, v3, v42 :: v_dual_add_f32 v8, v8, v28
	s_delay_alu instid0(VALU_DEP_3) | instskip(SKIP_2) | instid1(VALU_DEP_3)
	v_add_f32_e32 v9, v9, v31
	v_dual_sub_f32 v22, v56, v31 :: v_dual_add_f32 v55, v1, v49
	v_add_f32_e32 v66, v60, v43
	v_dual_add_f32 v2, v10, v8 :: v_dual_add_f32 v3, v11, v9
	v_add_f32_e32 v69, v61, v44
	v_sub_f32_e32 v72, v43, v24
	v_dual_sub_f32 v73, v35, v30 :: v_dual_sub_f32 v74, v44, v25
	ds_store_2addr_b64 v246, v[6:7], v[2:3] offset1:100
	v_dual_sub_f32 v2, v50, v58 :: v_dual_sub_f32 v3, v45, v40
	v_dual_sub_f32 v78, v57, v48 :: v_dual_sub_f32 v81, v50, v45
	v_sub_f32_e32 v85, v37, v33
	s_delay_alu instid0(VALU_DEP_3) | instskip(SKIP_2) | instid1(VALU_DEP_2)
	v_dual_sub_f32 v79, v59, v42 :: v_dual_add_f32 v12, v2, v3
	v_dual_add_f32 v2, v57, v48 :: v_dual_sub_f32 v3, v48, v42
	v_sub_f32_e32 v82, v58, v40
	v_fma_f32 v13, -0.5, v2, v5
	v_add_f32_e32 v2, v59, v42
	s_delay_alu instid0(VALU_DEP_1) | instskip(NEXT) | instid1(VALU_DEP_1)
	v_dual_fmac_f32 v5, -0.5, v2 :: v_dual_sub_f32 v2, v57, v59
	v_dual_fmamk_f32 v83, v81, 0xbf737871, v5 :: v_dual_add_f32 v14, v2, v3
	v_add_f32_e32 v2, v46, v38
	v_sub_f32_e32 v3, v38, v28
	v_fmac_f32_e32 v5, 0x3f737871, v81
	s_delay_alu instid0(VALU_DEP_4) | instskip(NEXT) | instid1(VALU_DEP_4)
	v_fmac_f32_e32 v83, 0x3f167918, v82
	v_fma_f32 v15, -0.5, v2, v62
	s_delay_alu instid0(VALU_DEP_3) | instskip(NEXT) | instid1(VALU_DEP_3)
	v_dual_add_f32 v2, v51, v28 :: v_dual_fmac_f32 v5, 0xbf167918, v82
	v_fmac_f32_e32 v83, 0x3e9e377a, v14
	s_delay_alu instid0(VALU_DEP_2) | instskip(NEXT) | instid1(VALU_DEP_3)
	v_fmac_f32_e32 v62, -0.5, v2
	v_dual_sub_f32 v2, v46, v51 :: v_dual_fmac_f32 v5, 0x3e9e377a, v14
	s_delay_alu instid0(VALU_DEP_1) | instskip(SKIP_2) | instid1(VALU_DEP_2)
	v_add_f32_e32 v16, v2, v3
	v_add_f32_e32 v2, v47, v39
	v_sub_f32_e32 v3, v39, v31
	v_fma_f32 v17, -0.5, v2, v63
	v_add_f32_e32 v2, v56, v31
	v_sub_f32_e32 v31, v31, v39
	v_sub_f32_e32 v39, v40, v45
	s_delay_alu instid0(VALU_DEP_3) | instskip(NEXT) | instid1(VALU_DEP_1)
	v_dual_fmac_f32 v63, -0.5, v2 :: v_dual_sub_f32 v2, v47, v56
	v_add_f32_e32 v18, v2, v3
	s_delay_alu instid0(VALU_DEP_2) | instskip(SKIP_3) | instid1(VALU_DEP_4)
	v_fmamk_f32 v2, v19, 0xbf737871, v63
	v_fmamk_f32 v3, v21, 0x3f737871, v62
	v_fmac_f32_e32 v63, 0x3f737871, v19
	v_fmac_f32_e32 v62, 0xbf737871, v21
	;; [unrolled: 1-line block ×3, first 2 shown]
	s_delay_alu instid0(VALU_DEP_4) | instskip(NEXT) | instid1(VALU_DEP_4)
	v_fmac_f32_e32 v3, 0xbf167918, v22
	v_fmac_f32_e32 v63, 0xbf167918, v20
	s_delay_alu instid0(VALU_DEP_4) | instskip(NEXT) | instid1(VALU_DEP_3)
	v_fmac_f32_e32 v62, 0x3f167918, v22
	v_dual_fmac_f32 v2, 0x3e9e377a, v18 :: v_dual_fmac_f32 v3, 0x3e9e377a, v16
	s_delay_alu instid0(VALU_DEP_2) | instskip(NEXT) | instid1(VALU_DEP_2)
	v_dual_fmac_f32 v63, 0x3e9e377a, v18 :: v_dual_fmac_f32 v62, 0x3e9e377a, v16
	v_mul_f32_e32 v23, 0xbf737871, v2
	v_mul_f32_e32 v52, 0x3e9e377a, v2
	v_sub_f32_e32 v2, v36, v41
	s_delay_alu instid0(VALU_DEP_4) | instskip(NEXT) | instid1(VALU_DEP_4)
	v_mul_f32_e32 v14, 0xbe9e377a, v63
	v_fmac_f32_e32 v23, 0x3e9e377a, v3
	s_delay_alu instid0(VALU_DEP_4) | instskip(NEXT) | instid1(VALU_DEP_1)
	v_dual_fmac_f32 v52, 0x3f737871, v3 :: v_dual_sub_f32 v3, v32, v26
	v_dual_fmac_f32 v14, 0x3f737871, v62 :: v_dual_add_f32 v53, v2, v3
	v_add_f32_e32 v2, v37, v33
	v_sub_f32_e32 v3, v33, v27
	s_delay_alu instid0(VALU_DEP_2) | instskip(SKIP_1) | instid1(VALU_DEP_1)
	v_fma_f32 v54, -0.5, v2, v1
	v_add_f32_e32 v2, v49, v27
	v_dual_fmac_f32 v1, -0.5, v2 :: v_dual_sub_f32 v2, v37, v49
	s_delay_alu instid0(VALU_DEP_1) | instskip(NEXT) | instid1(VALU_DEP_2)
	v_fmamk_f32 v90, v88, 0xbf737871, v1
	v_add_f32_e32 v64, v2, v3
	v_dual_add_f32 v2, v34, v29 :: v_dual_sub_f32 v3, v29, v24
	v_fmac_f32_e32 v1, 0x3f737871, v88
	s_delay_alu instid0(VALU_DEP_4) | instskip(NEXT) | instid1(VALU_DEP_3)
	v_fmac_f32_e32 v90, 0x3f167918, v89
	v_fma_f32 v65, -0.5, v2, v60
	s_delay_alu instid0(VALU_DEP_3) | instskip(NEXT) | instid1(VALU_DEP_3)
	v_dual_add_f32 v2, v43, v24 :: v_dual_fmac_f32 v1, 0xbf167918, v89
	v_fmac_f32_e32 v90, 0x3e9e377a, v64
	s_delay_alu instid0(VALU_DEP_2) | instskip(NEXT) | instid1(VALU_DEP_3)
	v_fmac_f32_e32 v60, -0.5, v2
	v_dual_sub_f32 v2, v34, v43 :: v_dual_fmac_f32 v1, 0x3e9e377a, v64
	s_delay_alu instid0(VALU_DEP_1) | instskip(SKIP_1) | instid1(VALU_DEP_2)
	v_dual_add_f32 v67, v2, v3 :: v_dual_add_f32 v2, v35, v30
	v_sub_f32_e32 v3, v30, v25
	v_fma_f32 v68, -0.5, v2, v61
	v_add_f32_e32 v2, v44, v25
	s_delay_alu instid0(VALU_DEP_1) | instskip(NEXT) | instid1(VALU_DEP_1)
	v_dual_fmac_f32 v61, -0.5, v2 :: v_dual_sub_f32 v2, v35, v44
	v_add_f32_e32 v70, v2, v3
	s_delay_alu instid0(VALU_DEP_2) | instskip(SKIP_3) | instid1(VALU_DEP_4)
	v_fmamk_f32 v2, v71, 0xbf737871, v61
	v_fmamk_f32 v3, v73, 0x3f737871, v60
	v_fmac_f32_e32 v61, 0x3f737871, v71
	v_fmac_f32_e32 v60, 0xbf737871, v73
	;; [unrolled: 1-line block ×3, first 2 shown]
	s_delay_alu instid0(VALU_DEP_4) | instskip(NEXT) | instid1(VALU_DEP_4)
	v_fmac_f32_e32 v3, 0xbf167918, v74
	v_fmac_f32_e32 v61, 0xbf167918, v72
	s_delay_alu instid0(VALU_DEP_4) | instskip(NEXT) | instid1(VALU_DEP_3)
	v_fmac_f32_e32 v60, 0x3f167918, v74
	v_dual_fmac_f32 v2, 0x3e9e377a, v70 :: v_dual_fmac_f32 v3, 0x3e9e377a, v67
	s_delay_alu instid0(VALU_DEP_2) | instskip(NEXT) | instid1(VALU_DEP_2)
	v_dual_fmac_f32 v61, 0x3e9e377a, v70 :: v_dual_fmac_f32 v60, 0x3e9e377a, v67
	v_mul_f32_e32 v75, 0xbf737871, v2
	v_mul_f32_e32 v76, 0x3e9e377a, v2
	v_add_f32_e32 v2, v58, v40
	s_delay_alu instid0(VALU_DEP_4)
	v_mul_f32_e32 v16, 0xbf737871, v61
	v_mul_f32_e32 v18, 0xbe9e377a, v61
	v_fmac_f32_e32 v75, 0x3e9e377a, v3
	v_fmac_f32_e32 v76, 0x3f737871, v3
	v_fma_f32 v77, -0.5, v2, v4
	v_dual_add_f32 v2, v41, v26 :: v_dual_add_f32 v3, v83, v52
	v_fmac_f32_e32 v16, 0xbe9e377a, v60
	s_delay_alu instid0(VALU_DEP_4) | instskip(NEXT) | instid1(VALU_DEP_4)
	v_add_f32_e32 v7, v90, v76
	v_fmamk_f32 v80, v78, 0x3f737871, v77
	s_delay_alu instid0(VALU_DEP_4)
	v_fma_f32 v84, -0.5, v2, v0
	v_fmac_f32_e32 v77, 0xbf737871, v78
	v_fmac_f32_e32 v18, 0x3f737871, v60
	v_add_f32_e32 v40, v50, v45
	v_fmac_f32_e32 v80, 0xbf167918, v79
	v_fmamk_f32 v87, v85, 0x3f737871, v84
	v_fmac_f32_e32 v77, 0x3f167918, v79
	v_fmac_f32_e32 v84, 0xbf737871, v85
	v_fma_f32 v40, -0.5, v40, v4
	v_fmac_f32_e32 v80, 0x3e9e377a, v12
	v_fmac_f32_e32 v87, 0xbf167918, v86
	;; [unrolled: 1-line block ×3, first 2 shown]
	v_mul_f32_e32 v12, 0xbf737871, v63
	v_fmac_f32_e32 v84, 0x3f167918, v86
	s_delay_alu instid0(VALU_DEP_4) | instskip(SKIP_1) | instid1(VALU_DEP_4)
	v_dual_add_f32 v2, v80, v23 :: v_dual_fmac_f32 v87, 0x3e9e377a, v53
	v_add_f32_e32 v4, v1, v18
	v_fmac_f32_e32 v12, 0xbe9e377a, v62
	s_delay_alu instid0(VALU_DEP_4) | instskip(NEXT) | instid1(VALU_DEP_4)
	v_fmac_f32_e32 v84, 0x3e9e377a, v53
	v_dual_add_f32 v6, v87, v75 :: v_dual_add_nc_u32 v53, 0x4c00, v246
	ds_store_2addr_b64 v91, v[2:3], v[6:7] offset0:60 offset1:160
	v_sub_f32_e32 v2, v77, v12
	v_dual_sub_f32 v3, v5, v14 :: v_dual_sub_f32 v6, v84, v16
	v_sub_f32_e32 v7, v1, v18
	v_add_f32_e32 v1, v77, v12
	ds_store_2addr_b64 v53, v[2:3], v[6:7] offset0:68 offset1:168
	v_dual_sub_f32 v2, v59, v57 :: v_dual_sub_f32 v3, v42, v48
	v_sub_f32_e32 v7, v28, v38
	v_sub_f32_e32 v38, v58, v50
	;; [unrolled: 1-line block ×4, first 2 shown]
	v_fmamk_f32 v50, v79, 0xbf737871, v40
	v_fmamk_f32 v53, v82, 0x3f737871, v13
	v_add_f32_e32 v38, v38, v39
	v_dual_add_f32 v39, v2, v3 :: v_dual_fmamk_f32 v2, v20, 0x3f737871, v17
	v_dual_add_f32 v28, v28, v31 :: v_dual_fmamk_f32 v3, v22, 0xbf737871, v15
	v_dual_add_f32 v42, v6, v7 :: v_dual_fmac_f32 v17, 0xbf737871, v20
	s_delay_alu instid0(VALU_DEP_3) | instskip(SKIP_1) | instid1(VALU_DEP_4)
	v_fmac_f32_e32 v2, 0x3f167918, v19
	v_fmamk_f32 v57, v89, 0x3f737871, v54
	v_dual_fmac_f32 v3, 0xbf167918, v21 :: v_dual_fmac_f32 v50, 0xbf167918, v78
	s_delay_alu instid0(VALU_DEP_4) | instskip(NEXT) | instid1(VALU_DEP_4)
	v_fmac_f32_e32 v17, 0xbf167918, v19
	v_fmac_f32_e32 v2, 0x3e9e377a, v28
	v_fmac_f32_e32 v53, 0x3f167918, v81
	s_delay_alu instid0(VALU_DEP_4)
	v_fmac_f32_e32 v3, 0x3e9e377a, v42
	v_fmac_f32_e32 v57, 0x3f167918, v88
	v_fmac_f32_e32 v17, 0x3e9e377a, v28
	v_mul_f32_e32 v31, 0xbf167918, v2
	v_dual_mul_f32 v45, 0x3f4f1bbd, v2 :: v_dual_sub_f32 v2, v41, v36
	v_dual_fmac_f32 v50, 0x3e9e377a, v38 :: v_dual_fmac_f32 v53, 0x3e9e377a, v39
	s_delay_alu instid0(VALU_DEP_3) | instskip(NEXT) | instid1(VALU_DEP_3)
	v_fmac_f32_e32 v31, 0x3f4f1bbd, v3
	v_fmac_f32_e32 v45, 0x3f167918, v3
	v_sub_f32_e32 v3, v26, v32
	v_dual_fmac_f32 v15, 0x3f737871, v22 :: v_dual_fmac_f32 v40, 0x3f737871, v79
	v_dual_fmac_f32 v13, 0xbf737871, v82 :: v_dual_fmac_f32 v54, 0xbf737871, v89
	s_delay_alu instid0(VALU_DEP_3) | instskip(SKIP_4) | instid1(VALU_DEP_3)
	v_add_f32_e32 v46, v2, v3
	v_sub_f32_e32 v2, v49, v37
	v_sub_f32_e32 v3, v27, v33
	v_dual_fmac_f32 v15, 0x3f167918, v21 :: v_dual_fmac_f32 v40, 0x3f167918, v78
	v_dual_fmac_f32 v13, 0xbf167918, v81 :: v_dual_fmac_f32 v54, 0xbf167918, v88
	v_dual_add_f32 v47, v2, v3 :: v_dual_sub_f32 v2, v43, v34
	v_sub_f32_e32 v3, v24, v29
	s_delay_alu instid0(VALU_DEP_4) | instskip(NEXT) | instid1(VALU_DEP_3)
	v_fmac_f32_e32 v15, 0x3e9e377a, v42
	v_dual_fmac_f32 v40, 0x3e9e377a, v38 :: v_dual_fmac_f32 v57, 0x3e9e377a, v47
	v_fmac_f32_e32 v13, 0x3e9e377a, v39
	s_delay_alu instid0(VALU_DEP_4) | instskip(SKIP_2) | instid1(VALU_DEP_2)
	v_add_f32_e32 v43, v2, v3
	v_dual_sub_f32 v2, v44, v35 :: v_dual_sub_f32 v3, v25, v30
	v_fmac_f32_e32 v54, 0x3e9e377a, v47
	v_add_f32_e32 v44, v2, v3
	v_fmamk_f32 v2, v72, 0x3f737871, v68
	v_dual_fmamk_f32 v3, v74, 0xbf737871, v65 :: v_dual_fmac_f32 v68, 0xbf737871, v72
	v_fmac_f32_e32 v65, 0x3f737871, v74
	s_delay_alu instid0(VALU_DEP_3) | instskip(NEXT) | instid1(VALU_DEP_3)
	v_fmac_f32_e32 v2, 0x3f167918, v71
	v_dual_fmac_f32 v3, 0xbf167918, v73 :: v_dual_fmac_f32 v68, 0xbf167918, v71
	s_delay_alu instid0(VALU_DEP_3) | instskip(NEXT) | instid1(VALU_DEP_2)
	v_fmac_f32_e32 v65, 0x3f167918, v73
	v_dual_fmac_f32 v2, 0x3e9e377a, v44 :: v_dual_fmac_f32 v3, 0x3e9e377a, v43
	s_delay_alu instid0(VALU_DEP_2) | instskip(NEXT) | instid1(VALU_DEP_2)
	v_dual_fmac_f32 v68, 0x3e9e377a, v44 :: v_dual_fmac_f32 v65, 0x3e9e377a, v43
	v_mul_f32_e32 v48, 0xbf167918, v2
	v_dual_mul_f32 v49, 0x3f4f1bbd, v2 :: v_dual_add_f32 v2, v36, v32
	s_delay_alu instid0(VALU_DEP_3) | instskip(NEXT) | instid1(VALU_DEP_3)
	v_mul_f32_e32 v12, 0xbf4f1bbd, v68
	v_fmac_f32_e32 v48, 0x3f4f1bbd, v3
	s_delay_alu instid0(VALU_DEP_3) | instskip(NEXT) | instid1(VALU_DEP_4)
	v_fmac_f32_e32 v49, 0x3f167918, v3
	v_fma_f32 v51, -0.5, v2, v0
	v_dual_add_f32 v2, v50, v31 :: v_dual_add_f32 v3, v53, v45
	v_fmac_f32_e32 v12, 0x3f167918, v65
	s_delay_alu instid0(VALU_DEP_3) | instskip(SKIP_1) | instid1(VALU_DEP_2)
	v_dual_add_f32 v7, v57, v49 :: v_dual_fmamk_f32 v56, v86, 0xbf737871, v51
	v_fmac_f32_e32 v51, 0x3f737871, v86
	v_fmac_f32_e32 v56, 0xbf167918, v85
	s_delay_alu instid0(VALU_DEP_2) | instskip(NEXT) | instid1(VALU_DEP_2)
	v_fmac_f32_e32 v51, 0x3f167918, v85
	v_fmac_f32_e32 v56, 0x3e9e377a, v46
	s_delay_alu instid0(VALU_DEP_1)
	v_dual_fmac_f32 v51, 0x3e9e377a, v46 :: v_dual_add_f32 v6, v56, v48
	ds_store_2addr_b64 v195, v[2:3], v[6:7] offset0:144 offset1:244
	v_dual_add_f32 v2, v5, v14 :: v_dual_add_f32 v3, v84, v16
	v_mul_f32_e32 v6, 0xbf4f1bbd, v17
	v_mul_f32_e32 v7, 0xbf167918, v68
	v_add_f32_e32 v5, v0, v41
	ds_store_2addr_b64 v193, v[1:2], v[3:4] offset0:104 offset1:204
	v_mul_f32_e32 v4, 0xbf167918, v17
	v_fmac_f32_e32 v6, 0x3f167918, v15
	v_fmac_f32_e32 v7, 0xbf4f1bbd, v65
	s_delay_alu instid0(VALU_DEP_3) | instskip(NEXT) | instid1(VALU_DEP_2)
	v_dual_add_f32 v3, v54, v12 :: v_dual_fmac_f32 v4, 0xbf4f1bbd, v15
	v_dual_add_f32 v1, v13, v6 :: v_dual_add_f32 v2, v51, v7
	s_delay_alu instid0(VALU_DEP_2) | instskip(SKIP_4) | instid1(VALU_DEP_2)
	v_add_f32_e32 v0, v40, v4
	ds_store_2addr_b64 v247, v[0:1], v[2:3] offset0:20 offset1:120
	v_sub_f32_e32 v0, v10, v8
	v_dual_add_f32 v2, v5, v36 :: v_dual_add_f32 v3, v55, v37
	v_dual_add_f32 v5, v66, v34 :: v_dual_add_f32 v8, v69, v35
	v_dual_sub_f32 v1, v11, v9 :: v_dual_add_f32 v2, v2, v32
	s_delay_alu instid0(VALU_DEP_3) | instskip(NEXT) | instid1(VALU_DEP_3)
	v_add_f32_e32 v3, v3, v33
	v_dual_add_f32 v5, v5, v29 :: v_dual_add_f32 v8, v8, v30
	s_delay_alu instid0(VALU_DEP_2) | instskip(NEXT) | instid1(VALU_DEP_2)
	v_dual_add_f32 v9, v2, v26 :: v_dual_add_f32 v10, v3, v27
	v_dual_add_f32 v5, v5, v24 :: v_dual_add_f32 v8, v8, v25
	s_delay_alu instid0(VALU_DEP_1)
	v_dual_sub_f32 v2, v9, v5 :: v_dual_sub_f32 v3, v10, v8
	ds_store_2addr_b64 v191, v[0:1], v[2:3] offset0:64 offset1:164
	v_dual_sub_f32 v0, v50, v31 :: v_dual_sub_f32 v1, v53, v45
	v_dual_sub_f32 v2, v56, v48 :: v_dual_sub_f32 v3, v57, v49
	ds_store_2addr_b64 v161, v[0:1], v[2:3] offset0:108 offset1:208
	v_dual_sub_f32 v0, v80, v23 :: v_dual_sub_f32 v1, v83, v52
	;; [unrolled: 3-line block ×3, first 2 shown]
	v_dual_sub_f32 v2, v51, v7 :: v_dual_sub_f32 v3, v54, v12
	ds_store_2addr_b64 v189, v[0:1], v[2:3] offset0:112 offset1:212
	v_dual_add_f32 v0, v9, v5 :: v_dual_add_f32 v1, v10, v8
	ds_store_b64 v246, v[0:1] offset:1600
	global_wb scope:SCOPE_SE
	s_wait_dscnt 0x0
	s_barrier_signal -1
	s_barrier_wait -1
	global_inv scope:SCOPE_SE
	scratch_load_b64 v[5:6], off, off offset:208 th:TH_LOAD_LU ; 8-byte Folded Reload
	ds_load_2addr_b64 v[1:4], v246 offset1:100
	s_clause 0x1
	scratch_load_b64 v[18:19], off, off offset:276 th:TH_LOAD_LU
	scratch_load_b64 v[9:10], off, off offset:184 th:TH_LOAD_LU
	ds_load_2addr_b64 v[13:16], v159 offset0:48 offset1:148
	s_clause 0xe
	scratch_load_b64 v[27:28], off, off offset:144 th:TH_LOAD_LU
	scratch_load_b64 v[32:33], off, off offset:136 th:TH_LOAD_LU
	scratch_load_b64 v[30:31], off, off offset:128 th:TH_LOAD_LU
	scratch_load_b64 v[34:35], off, off offset:32 th:TH_LOAD_LU
	scratch_load_b64 v[42:43], off, off offset:24 th:TH_LOAD_LU
	scratch_load_b64 v[50:51], off, off offset:16 th:TH_LOAD_LU
	scratch_load_b64 v[58:59], off, off offset:8 th:TH_LOAD_LU
	scratch_load_b64 v[38:39], off, off offset:96 th:TH_LOAD_LU
	scratch_load_b64 v[40:41], off, off offset:104 th:TH_LOAD_LU
	scratch_load_b64 v[46:47], off, off offset:120 th:TH_LOAD_LU
	scratch_load_b64 v[48:49], off, off offset:88 th:TH_LOAD_LU
	scratch_load_b64 v[54:55], off, off offset:72 th:TH_LOAD_LU
	scratch_load_b64 v[62:63], off, off offset:48 th:TH_LOAD_LU
	scratch_load_b64 v[64:65], off, off offset:56 th:TH_LOAD_LU
	scratch_load_b32 v21, off, off offset:224 th:TH_LOAD_LU
	s_wait_loadcnt_dscnt 0x1101
	v_mul_f32_e32 v0, v6, v2
	s_delay_alu instid0(VALU_DEP_1) | instskip(SKIP_1) | instid1(VALU_DEP_1)
	v_fmac_f32_e32 v0, v5, v1
	v_mul_f32_e32 v1, v6, v1
	v_fma_f32 v1, v5, v2, -v1
	scratch_load_b64 v[5:6], off, off offset:200 th:TH_LOAD_LU ; 8-byte Folded Reload
	s_wait_loadcnt 0x0
	v_mul_f32_e32 v2, v6, v4
	s_delay_alu instid0(VALU_DEP_1) | instskip(SKIP_1) | instid1(VALU_DEP_1)
	v_fmac_f32_e32 v2, v5, v3
	v_mul_f32_e32 v3, v6, v3
	v_fma_f32 v3, v5, v4, -v3
	ds_load_2addr_b64 v[4:7], v211 offset0:88 offset1:188
	s_wait_dscnt 0x0
	v_mul_f32_e32 v8, v10, v5
	s_delay_alu instid0(VALU_DEP_1)
	v_fmac_f32_e32 v8, v9, v4
	v_mul_f32_e32 v4, v10, v4
	scratch_load_b64 v[10:11], off, off offset:216 th:TH_LOAD_LU ; 8-byte Folded Reload
	v_fma_f32 v9, v9, v5, -v4
	s_wait_loadcnt 0x0
	v_mul_f32_e32 v4, v11, v7
	v_mul_f32_e32 v5, v11, v6
	s_delay_alu instid0(VALU_DEP_2) | instskip(NEXT) | instid1(VALU_DEP_2)
	v_fmac_f32_e32 v4, v10, v6
	v_fma_f32 v5, v10, v7, -v5
	scratch_load_b64 v[10:11], off, off offset:168 th:TH_LOAD_LU ; 8-byte Folded Reload
	s_wait_loadcnt 0x0
	v_mul_f32_e32 v12, v11, v14
	v_mul_f32_e32 v6, v11, v13
	s_delay_alu instid0(VALU_DEP_2) | instskip(NEXT) | instid1(VALU_DEP_2)
	v_fmac_f32_e32 v12, v10, v13
	v_fma_f32 v13, v10, v14, -v6
	scratch_load_b64 v[10:11], off, off offset:236 th:TH_LOAD_LU ; 8-byte Folded Reload
	s_wait_loadcnt 0x0
	v_mul_f32_e32 v6, v11, v16
	v_mul_f32_e32 v7, v11, v15
	s_delay_alu instid0(VALU_DEP_2) | instskip(NEXT) | instid1(VALU_DEP_2)
	v_fmac_f32_e32 v6, v10, v15
	v_fma_f32 v10, v10, v16, -v7
	ds_load_2addr_b64 v[14:17], v161 offset0:8 offset1:108
	s_wait_dscnt 0x0
	v_mul_f32_e32 v23, v19, v15
	v_mul_f32_e32 v7, v19, v14
	s_delay_alu instid0(VALU_DEP_2) | instskip(NEXT) | instid1(VALU_DEP_2)
	v_fmac_f32_e32 v23, v18, v14
	v_fma_f32 v24, v18, v15, -v7
	s_clause 0x1
	scratch_load_b64 v[14:15], off, off offset:192 th:TH_LOAD_LU
	scratch_load_b64 v[18:19], off, off offset:284 th:TH_LOAD_LU
	s_wait_loadcnt 0x1
	v_mul_f32_e32 v7, v15, v17
	v_mul_f32_e32 v11, v15, v16
	s_delay_alu instid0(VALU_DEP_2) | instskip(NEXT) | instid1(VALU_DEP_2)
	v_fmac_f32_e32 v7, v14, v16
	v_fma_f32 v11, v14, v17, -v11
	ds_load_2addr_b64 v[14:17], v199 offset0:96 offset1:196
	s_wait_loadcnt_dscnt 0x0
	v_mul_f32_e32 v25, v19, v15
	s_delay_alu instid0(VALU_DEP_1) | instskip(SKIP_1) | instid1(VALU_DEP_1)
	v_fmac_f32_e32 v25, v18, v14
	v_mul_f32_e32 v14, v19, v14
	v_fma_f32 v26, v18, v15, -v14
	scratch_load_b64 v[18:19], off, off offset:176 th:TH_LOAD_LU ; 8-byte Folded Reload
	s_wait_loadcnt 0x0
	v_mul_f32_e32 v15, v19, v17
	v_mul_f32_e32 v14, v19, v16
	s_delay_alu instid0(VALU_DEP_2) | instskip(NEXT) | instid1(VALU_DEP_2)
	v_fmac_f32_e32 v15, v18, v16
	v_fma_f32 v16, v18, v17, -v14
	ds_load_2addr_b64 v[17:20], v248 offset0:72 offset1:172
	s_wait_dscnt 0x0
	v_mul_f32_e32 v22, v28, v20
	v_mul_f32_e32 v14, v28, v19
	s_delay_alu instid0(VALU_DEP_2) | instskip(NEXT) | instid1(VALU_DEP_2)
	v_fmac_f32_e32 v22, v27, v19
	v_fma_f32 v27, v27, v20, -v14
	scratch_load_b64 v[19:20], off, off offset:160 th:TH_LOAD_LU ; 8-byte Folded Reload
	s_wait_loadcnt 0x0
	v_mul_f32_e32 v14, v20, v18
	s_delay_alu instid0(VALU_DEP_1) | instskip(SKIP_1) | instid1(VALU_DEP_1)
	v_fmac_f32_e32 v14, v19, v17
	v_mul_f32_e32 v17, v20, v17
	v_fma_f32 v28, v19, v18, -v17
	ds_load_2addr_b64 v[17:20], v195 offset0:144 offset1:244
	s_wait_dscnt 0x0
	v_mul_f32_e32 v29, v31, v18
	s_delay_alu instid0(VALU_DEP_1) | instskip(SKIP_2) | instid1(VALU_DEP_2)
	v_fmac_f32_e32 v29, v30, v17
	v_mul_f32_e32 v17, v31, v17
	v_mul_f32_e32 v31, v33, v20
	v_fma_f32 v30, v30, v18, -v17
	v_mul_f32_e32 v17, v33, v19
	s_delay_alu instid0(VALU_DEP_3) | instskip(NEXT) | instid1(VALU_DEP_2)
	v_fmac_f32_e32 v31, v32, v19
	v_fma_f32 v32, v32, v20, -v17
	ds_load_2addr_b64 v[17:20], v250 offset0:32 offset1:132
	s_wait_dscnt 0x0
	v_mul_f32_e32 v33, v35, v20
	s_delay_alu instid0(VALU_DEP_1) | instskip(SKIP_1) | instid1(VALU_DEP_1)
	v_fmac_f32_e32 v33, v34, v19
	v_mul_f32_e32 v19, v35, v19
	v_fma_f32 v34, v34, v20, -v19
	scratch_load_b64 v[19:20], off, off offset:152 th:TH_LOAD_LU ; 8-byte Folded Reload
	s_wait_loadcnt 0x0
	v_mul_f32_e32 v35, v20, v18
	s_delay_alu instid0(VALU_DEP_1) | instskip(SKIP_1) | instid1(VALU_DEP_1)
	v_fmac_f32_e32 v35, v19, v17
	v_mul_f32_e32 v17, v20, v17
	v_fma_f32 v36, v19, v18, -v17
	ds_load_2addr_b64 v[17:20], v193 offset0:104 offset1:204
	s_wait_dscnt 0x0
	v_mul_f32_e32 v37, v39, v18
	s_delay_alu instid0(VALU_DEP_1) | instskip(SKIP_2) | instid1(VALU_DEP_2)
	v_fmac_f32_e32 v37, v38, v17
	v_mul_f32_e32 v17, v39, v17
	v_mul_f32_e32 v39, v41, v20
	v_fma_f32 v38, v38, v18, -v17
	v_mul_f32_e32 v17, v41, v19
	s_delay_alu instid0(VALU_DEP_3) | instskip(NEXT) | instid1(VALU_DEP_2)
	v_fmac_f32_e32 v39, v40, v19
	v_fma_f32 v40, v40, v20, -v17
	ds_load_2addr_b64 v[17:20], v247 offset0:120 offset1:220
	s_wait_dscnt 0x0
	v_mul_f32_e32 v41, v43, v20
	s_delay_alu instid0(VALU_DEP_1) | instskip(SKIP_1) | instid1(VALU_DEP_1)
	v_fmac_f32_e32 v41, v42, v19
	v_mul_f32_e32 v19, v43, v19
	;; [unrolled: 26-line block ×3, first 2 shown]
	v_fma_f32 v50, v50, v20, -v19
	scratch_load_b64 v[19:20], off, off offset:64 th:TH_LOAD_LU ; 8-byte Folded Reload
	s_wait_loadcnt 0x0
	v_mul_f32_e32 v51, v20, v18
	s_delay_alu instid0(VALU_DEP_1) | instskip(SKIP_1) | instid1(VALU_DEP_1)
	v_fmac_f32_e32 v51, v19, v17
	v_mul_f32_e32 v17, v20, v17
	v_fma_f32 v52, v19, v18, -v17
	ds_load_2addr_b64 v[17:20], v156 offset0:152 offset1:252
	s_wait_dscnt 0x0
	v_mul_f32_e32 v53, v55, v18
	s_delay_alu instid0(VALU_DEP_1) | instskip(SKIP_1) | instid1(VALU_DEP_1)
	v_fmac_f32_e32 v53, v54, v17
	v_mul_f32_e32 v17, v55, v17
	v_fma_f32 v54, v54, v18, -v17
	scratch_load_b64 v[17:18], off, off offset:80 th:TH_LOAD_LU ; 8-byte Folded Reload
	s_wait_loadcnt 0x0
	v_mul_f32_e32 v55, v18, v20
	v_dual_mov_b32 v57, v18 :: v_dual_mov_b32 v56, v17
	s_delay_alu instid0(VALU_DEP_2) | instskip(NEXT) | instid1(VALU_DEP_2)
	v_fmac_f32_e32 v55, v17, v19
	v_mul_f32_e32 v17, v57, v19
	s_delay_alu instid0(VALU_DEP_1) | instskip(SKIP_3) | instid1(VALU_DEP_1)
	v_fma_f32 v56, v56, v20, -v17
	ds_load_2addr_b64 v[17:20], v232 offset0:40 offset1:140
	s_wait_dscnt 0x0
	v_mul_f32_e32 v57, v59, v20
	v_fmac_f32_e32 v57, v58, v19
	v_mul_f32_e32 v19, v59, v19
	s_delay_alu instid0(VALU_DEP_1) | instskip(SKIP_3) | instid1(VALU_DEP_1)
	v_fma_f32 v58, v58, v20, -v19
	scratch_load_b64 v[19:20], off, off offset:40 th:TH_LOAD_LU ; 8-byte Folded Reload
	s_wait_loadcnt 0x0
	v_mul_f32_e32 v59, v20, v18
	v_fmac_f32_e32 v59, v19, v17
	v_mul_f32_e32 v17, v20, v17
	s_delay_alu instid0(VALU_DEP_1) | instskip(SKIP_3) | instid1(VALU_DEP_1)
	v_fma_f32 v60, v19, v18, -v17
	ds_load_2addr_b64 v[17:20], v189 offset0:112 offset1:212
	s_wait_dscnt 0x0
	v_mul_f32_e32 v61, v63, v18
	v_fmac_f32_e32 v61, v62, v17
	v_mul_f32_e32 v17, v63, v17
	v_mul_f32_e32 v63, v65, v20
	s_delay_alu instid0(VALU_DEP_2) | instskip(SKIP_1) | instid1(VALU_DEP_3)
	v_fma_f32 v62, v62, v18, -v17
	v_mul_f32_e32 v17, v65, v19
	v_fmac_f32_e32 v63, v64, v19
	s_delay_alu instid0(VALU_DEP_2) | instskip(SKIP_3) | instid1(VALU_DEP_1)
	v_fma_f32 v64, v64, v20, -v17
	scratch_load_b64 v[19:20], off, off th:TH_LOAD_LU ; 8-byte Folded Reload
	s_wait_loadcnt 0x0
	v_mad_co_u64_u32 v[17:18], null, s6, v19, 0
	v_mad_co_u64_u32 v[18:19], null, s7, v19, v[18:19]
	v_mad_co_u64_u32 v[19:20], null, s4, v21, 0
	s_delay_alu instid0(VALU_DEP_2) | instskip(NEXT) | instid1(VALU_DEP_2)
	v_lshlrev_b64_e32 v[17:18], 3, v[17:18]
	v_mad_co_u64_u32 v[20:21], null, s5, v21, v[20:21]
	s_delay_alu instid0(VALU_DEP_2) | instskip(SKIP_1) | instid1(VALU_DEP_3)
	v_add_co_u32 v21, vcc_lo, s0, v17
	s_wait_alu 0xfffd
	v_add_co_ci_u32_e32 v65, vcc_lo, s1, v18, vcc_lo
	s_delay_alu instid0(VALU_DEP_3) | instskip(SKIP_4) | instid1(VALU_DEP_3)
	v_lshlrev_b64_e32 v[17:18], 3, v[19:20]
	v_cvt_f64_f32_e32 v[19:20], v0
	v_cvt_f64_f32_e32 v[0:1], v1
	s_mul_u64 s[0:1], s[4:5], 0x960
	s_mulk_i32 s5, 0xaec0
	v_add_co_u32 v17, vcc_lo, v21, v17
	s_wait_alu 0xfffd
	v_add_co_ci_u32_e32 v18, vcc_lo, v65, v18, vcc_lo
	s_wait_alu 0xfffe
	s_sub_co_i32 s5, s5, s4
	s_delay_alu instid0(VALU_DEP_4) | instskip(NEXT) | instid1(VALU_DEP_4)
	v_mul_f64_e32 v[19:20], s[2:3], v[19:20]
	v_mul_f64_e32 v[0:1], s[2:3], v[0:1]
	s_delay_alu instid0(VALU_DEP_2) | instskip(NEXT) | instid1(VALU_DEP_2)
	v_cvt_f32_f64_e32 v19, v[19:20]
	v_cvt_f32_f64_e32 v20, v[0:1]
	v_cvt_f64_f32_e32 v[0:1], v22
	v_cvt_f64_f32_e32 v[21:22], v27
	global_store_b64 v[17:18], v[19:20], off
	v_mul_f64_e32 v[0:1], s[2:3], v[0:1]
	v_mul_f64_e32 v[21:22], s[2:3], v[21:22]
	v_cvt_f64_f32_e32 v[19:20], v8
	v_cvt_f64_f32_e32 v[8:9], v9
	v_add_co_u32 v17, vcc_lo, v17, s0
	s_wait_alu 0xfffd
	v_add_co_ci_u32_e32 v18, vcc_lo, s1, v18, vcc_lo
	v_cvt_f32_f64_e32 v0, v[0:1]
	v_cvt_f32_f64_e32 v1, v[21:22]
	v_mul_f64_e32 v[19:20], s[2:3], v[19:20]
	v_mul_f64_e32 v[8:9], s[2:3], v[8:9]
	v_cvt_f64_f32_e32 v[21:22], v24
	global_store_b64 v[17:18], v[0:1], off
	v_add_co_u32 v0, vcc_lo, v17, s0
	v_cvt_f32_f64_e32 v19, v[19:20]
	v_cvt_f32_f64_e32 v20, v[8:9]
	s_wait_alu 0xfffd
	v_add_co_ci_u32_e32 v1, vcc_lo, s1, v18, vcc_lo
	v_cvt_f64_f32_e32 v[8:9], v33
	v_cvt_f64_f32_e32 v[17:18], v34
	v_mul_f64_e32 v[21:22], s[2:3], v[21:22]
	v_cvt_f64_f32_e32 v[33:34], v47
	global_store_b64 v[0:1], v[19:20], off
	v_cvt_f64_f32_e32 v[19:20], v42
	v_add_co_u32 v0, vcc_lo, v0, s0
	v_mul_f64_e32 v[8:9], s[2:3], v[8:9]
	v_mul_f64_e32 v[17:18], s[2:3], v[17:18]
	s_wait_alu 0xfffd
	v_add_co_ci_u32_e32 v1, vcc_lo, s1, v1, vcc_lo
	v_mul_f64_e32 v[33:34], s[2:3], v[33:34]
	v_mul_f64_e32 v[19:20], s[2:3], v[19:20]
	v_cvt_f32_f64_e32 v8, v[8:9]
	v_cvt_f32_f64_e32 v9, v[17:18]
	v_cvt_f64_f32_e32 v[17:18], v12
	v_cvt_f64_f32_e32 v[12:13], v13
	global_store_b64 v[0:1], v[8:9], off
	v_mul_f64_e32 v[17:18], s[2:3], v[17:18]
	v_mul_f64_e32 v[12:13], s[2:3], v[12:13]
	v_add_co_u32 v0, vcc_lo, v0, s0
	s_wait_alu 0xfffd
	v_add_co_ci_u32_e32 v1, vcc_lo, s1, v1, vcc_lo
	v_cvt_f64_f32_e32 v[8:9], v25
	v_cvt_f32_f64_e32 v17, v[17:18]
	v_cvt_f32_f64_e32 v18, v[12:13]
	v_cvt_f64_f32_e32 v[12:13], v41
	v_cvt_f64_f32_e32 v[41:42], v63
	v_mul_f64_e32 v[8:9], s[2:3], v[8:9]
	global_store_b64 v[0:1], v[17:18], off
	v_mul_f64_e32 v[12:13], s[2:3], v[12:13]
	v_add_co_u32 v0, vcc_lo, v0, s0
	s_wait_alu 0xfffd
	v_add_co_ci_u32_e32 v1, vcc_lo, s1, v1, vcc_lo
	v_cvt_f32_f64_e32 v8, v[8:9]
	v_cvt_f64_f32_e32 v[17:18], v58
	v_mul_f64_e32 v[41:42], s[2:3], v[41:42]
	v_cvt_f32_f64_e32 v12, v[12:13]
	v_cvt_f32_f64_e32 v13, v[19:20]
	v_cvt_f64_f32_e32 v[19:20], v23
	v_cvt_f64_f32_e32 v[23:24], v50
	v_mul_f64_e32 v[17:18], s[2:3], v[17:18]
	global_store_b64 v[0:1], v[12:13], off
	v_mul_f64_e32 v[19:20], s[2:3], v[19:20]
	v_cvt_f64_f32_e32 v[12:13], v26
	v_mul_f64_e32 v[23:24], s[2:3], v[23:24]
	v_add_co_u32 v0, vcc_lo, v0, s0
	s_wait_alu 0xfffd
	v_add_co_ci_u32_e32 v1, vcc_lo, s1, v1, vcc_lo
	v_cvt_f32_f64_e32 v19, v[19:20]
	v_cvt_f32_f64_e32 v20, v[21:22]
	v_cvt_f64_f32_e32 v[21:22], v49
	v_mul_f64_e32 v[12:13], s[2:3], v[12:13]
	global_store_b64 v[0:1], v[19:20], off
	v_mul_f64_e32 v[21:22], s[2:3], v[21:22]
	v_cvt_f32_f64_e32 v9, v[12:13]
	v_add_co_u32 v0, vcc_lo, v0, s0
	s_wait_alu 0xfffd
	v_add_co_ci_u32_e32 v1, vcc_lo, s1, v1, vcc_lo
	v_cvt_f64_f32_e32 v[12:13], v57
	v_cvt_f64_f32_e32 v[19:20], v45
	v_cvt_f32_f64_e32 v21, v[21:22]
	v_cvt_f32_f64_e32 v22, v[23:24]
	v_cvt_f64_f32_e32 v[23:24], v62
	v_mul_f64_e32 v[12:13], s[2:3], v[12:13]
	v_mul_f64_e32 v[19:20], s[2:3], v[19:20]
	global_store_b64 v[0:1], v[21:22], off
	v_add_co_u32 v0, vcc_lo, v0, s0
	s_wait_alu 0xfffd
	v_add_co_ci_u32_e32 v1, vcc_lo, s1, v1, vcc_lo
	v_cvt_f32_f64_e32 v12, v[12:13]
	v_cvt_f32_f64_e32 v13, v[17:18]
	v_cvt_f64_f32_e32 v[17:18], v30
	global_store_b64 v[0:1], v[8:9], off
	v_cvt_f64_f32_e32 v[8:9], v2
	v_cvt_f64_f32_e32 v[2:3], v3
	v_add_co_u32 v0, vcc_lo, v0, s0
	s_wait_alu 0xfffd
	v_add_co_ci_u32_e32 v1, vcc_lo, s1, v1, vcc_lo
	v_cvt_f64_f32_e32 v[21:22], v46
	global_store_b64 v[0:1], v[12:13], off
	v_mul_f64_e32 v[17:18], s[2:3], v[17:18]
	v_cvt_f64_f32_e32 v[12:13], v38
	v_mul_f64_e32 v[8:9], s[2:3], v[8:9]
	v_mul_f64_e32 v[2:3], s[2:3], v[2:3]
	v_mad_co_u64_u32 v[0:1], null, 0xffffaec0, s4, v[0:1]
	v_mul_f64_e32 v[21:22], s[2:3], v[21:22]
	s_wait_alu 0xfffe
	s_delay_alu instid0(VALU_DEP_2)
	v_add_nc_u32_e32 v1, s5, v1
	v_mul_f64_e32 v[12:13], s[2:3], v[12:13]
	v_cvt_f32_f64_e32 v8, v[8:9]
	v_cvt_f32_f64_e32 v9, v[2:3]
	v_cvt_f64_f32_e32 v[2:3], v29
	v_cvt_f64_f32_e32 v[29:30], v43
	global_store_b64 v[0:1], v[8:9], off
	v_mul_f64_e32 v[2:3], s[2:3], v[2:3]
	v_cvt_f64_f32_e32 v[8:9], v6
	v_add_co_u32 v0, vcc_lo, v0, s0
	s_wait_alu 0xfffd
	v_add_co_ci_u32_e32 v1, vcc_lo, s1, v1, vcc_lo
	v_mul_f64_e32 v[29:30], s[2:3], v[29:30]
	v_cvt_f32_f64_e32 v2, v[2:3]
	v_cvt_f32_f64_e32 v3, v[17:18]
	v_cvt_f64_f32_e32 v[17:18], v4
	v_cvt_f64_f32_e32 v[4:5], v5
	v_mul_f64_e32 v[8:9], s[2:3], v[8:9]
	global_store_b64 v[0:1], v[2:3], off
	v_mul_f64_e32 v[17:18], s[2:3], v[17:18]
	v_mul_f64_e32 v[4:5], s[2:3], v[4:5]
	v_cvt_f64_f32_e32 v[2:3], v7
	v_cvt_f64_f32_e32 v[6:7], v11
	v_cvt_f32_f64_e32 v8, v[8:9]
	v_cvt_f32_f64_e32 v11, v[21:22]
	v_cvt_f64_f32_e32 v[21:22], v15
	v_cvt_f64_f32_e32 v[15:16], v16
	v_add_co_u32 v0, vcc_lo, v0, s0
	s_wait_alu 0xfffd
	v_add_co_ci_u32_e32 v1, vcc_lo, s1, v1, vcc_lo
	v_cvt_f32_f64_e32 v17, v[17:18]
	v_cvt_f32_f64_e32 v18, v[4:5]
	v_cvt_f64_f32_e32 v[4:5], v37
	v_mul_f64_e32 v[2:3], s[2:3], v[2:3]
	v_mul_f64_e32 v[6:7], s[2:3], v[6:7]
	v_cvt_f64_f32_e32 v[37:38], v59
	v_mul_f64_e32 v[21:22], s[2:3], v[21:22]
	v_mul_f64_e32 v[15:16], s[2:3], v[15:16]
	global_store_b64 v[0:1], v[17:18], off
	v_mul_f64_e32 v[4:5], s[2:3], v[4:5]
	v_cvt_f32_f64_e32 v2, v[2:3]
	v_cvt_f32_f64_e32 v3, v[6:7]
	v_cvt_f64_f32_e32 v[6:7], v61
	v_add_co_u32 v0, vcc_lo, v0, s0
	s_wait_alu 0xfffd
	v_add_co_ci_u32_e32 v1, vcc_lo, s1, v1, vcc_lo
	v_cvt_f32_f64_e32 v17, v[21:22]
	v_cvt_f32_f64_e32 v18, v[15:16]
	v_add_co_u32 v15, vcc_lo, v0, s0
	s_wait_alu 0xfffd
	v_add_co_ci_u32_e32 v16, vcc_lo, s1, v1, vcc_lo
	v_cvt_f64_f32_e32 v[21:22], v36
	v_mul_f64_e32 v[37:38], s[2:3], v[37:38]
	v_cvt_f32_f64_e32 v4, v[4:5]
	v_cvt_f32_f64_e32 v5, v[12:13]
	v_cvt_f64_f32_e32 v[12:13], v10
	v_cvt_f32_f64_e32 v10, v[19:20]
	v_cvt_f64_f32_e32 v[19:20], v54
	global_store_b64 v[0:1], v[4:5], off
	v_mul_f64_e32 v[12:13], s[2:3], v[12:13]
	v_mul_f64_e32 v[4:5], s[2:3], v[6:7]
	;; [unrolled: 1-line block ×4, first 2 shown]
	v_add_co_u32 v0, vcc_lo, v15, s0
	s_wait_alu 0xfffd
	v_add_co_ci_u32_e32 v1, vcc_lo, s1, v16, vcc_lo
	v_cvt_f64_f32_e32 v[23:24], v39
	v_cvt_f32_f64_e32 v9, v[12:13]
	v_cvt_f64_f32_e32 v[12:13], v53
	v_cvt_f32_f64_e32 v4, v[4:5]
	v_cvt_f32_f64_e32 v5, v[6:7]
	v_cvt_f64_f32_e32 v[6:7], v55
	global_store_b64 v[15:16], v[8:9], off
	v_mul_f64_e32 v[12:13], s[2:3], v[12:13]
	v_add_co_u32 v8, vcc_lo, v0, s0
	s_wait_alu 0xfffd
	v_add_co_ci_u32_e32 v9, vcc_lo, s1, v1, vcc_lo
	global_store_b64 v[0:1], v[10:11], off
	v_cvt_f64_f32_e32 v[0:1], v14
	v_cvt_f64_f32_e32 v[10:11], v28
	global_store_b64 v[8:9], v[2:3], off
	v_add_co_u32 v2, vcc_lo, v8, s0
	v_cvt_f64_f32_e32 v[14:15], v31
	s_wait_alu 0xfffd
	v_add_co_ci_u32_e32 v3, vcc_lo, s1, v9, vcc_lo
	v_cvt_f64_f32_e32 v[8:9], v32
	v_add_co_u32 v25, vcc_lo, v2, s0
	s_wait_alu 0xfffd
	s_delay_alu instid0(VALU_DEP_3)
	v_add_co_ci_u32_e32 v26, vcc_lo, s1, v3, vcc_lo
	v_cvt_f64_f32_e32 v[27:28], v40
	v_cvt_f64_f32_e32 v[31:32], v44
	v_add_co_u32 v16, vcc_lo, v25, s0
	v_cvt_f64_f32_e32 v[39:40], v60
	v_cvt_f64_f32_e32 v[43:44], v64
	v_mul_f64_e32 v[6:7], s[2:3], v[6:7]
	v_cvt_f32_f64_e32 v12, v[12:13]
	v_cvt_f32_f64_e32 v13, v[19:20]
	v_cvt_f64_f32_e32 v[19:20], v35
	v_cvt_f64_f32_e32 v[35:36], v48
	global_store_b64 v[2:3], v[12:13], off
	global_store_b64 v[25:26], v[17:18], off
	v_cvt_f64_f32_e32 v[2:3], v51
	v_cvt_f64_f32_e32 v[12:13], v52
	s_wait_alu 0xfffd
	v_add_co_ci_u32_e32 v17, vcc_lo, s1, v26, vcc_lo
	v_cvt_f64_f32_e32 v[25:26], v56
	v_mul_f64_e32 v[0:1], s[2:3], v[0:1]
	v_mul_f64_e32 v[10:11], s[2:3], v[10:11]
	;; [unrolled: 1-line block ×12, first 2 shown]
	v_cvt_f32_f64_e32 v6, v[6:7]
	global_store_b64 v[16:17], v[4:5], off
	v_mul_f64_e32 v[2:3], s[2:3], v[2:3]
	v_mul_f64_e32 v[12:13], s[2:3], v[12:13]
	;; [unrolled: 1-line block ×3, first 2 shown]
	v_cvt_f32_f64_e32 v0, v[0:1]
	v_cvt_f32_f64_e32 v1, v[10:11]
	;; [unrolled: 1-line block ×4, first 2 shown]
	v_mad_co_u64_u32 v[14:15], null, 0xffffaec0, s4, v[16:17]
	v_cvt_f32_f64_e32 v8, v[18:19]
	v_cvt_f32_f64_e32 v9, v[20:21]
	;; [unrolled: 1-line block ×6, first 2 shown]
	v_add_nc_u32_e32 v15, s5, v15
	v_add_co_u32 v26, vcc_lo, v14, s0
	v_cvt_f32_f64_e32 v22, v[33:34]
	v_cvt_f32_f64_e32 v23, v[35:36]
	s_wait_alu 0xfffd
	v_add_co_ci_u32_e32 v27, vcc_lo, s1, v15, vcc_lo
	v_cvt_f32_f64_e32 v28, v[41:42]
	v_cvt_f32_f64_e32 v29, v[43:44]
	;; [unrolled: 1-line block ×4, first 2 shown]
	v_add_co_u32 v12, vcc_lo, v26, s0
	s_wait_alu 0xfffd
	v_add_co_ci_u32_e32 v13, vcc_lo, s1, v27, vcc_lo
	v_cvt_f32_f64_e32 v7, v[24:25]
	v_cvt_f32_f64_e32 v24, v[37:38]
	;; [unrolled: 1-line block ×3, first 2 shown]
	v_add_co_u32 v30, vcc_lo, v12, s0
	s_wait_alu 0xfffd
	v_add_co_ci_u32_e32 v31, vcc_lo, s1, v13, vcc_lo
	global_store_b64 v[14:15], v[0:1], off
	v_add_co_u32 v4, vcc_lo, v30, s0
	s_wait_alu 0xfffd
	v_add_co_ci_u32_e32 v5, vcc_lo, s1, v31, vcc_lo
	global_store_b64 v[26:27], v[10:11], off
	;; [unrolled: 4-line block ×5, first 2 shown]
	v_add_co_u32 v12, vcc_lo, v8, s0
	s_wait_alu 0xfffd
	v_add_co_ci_u32_e32 v13, vcc_lo, s1, v9, vcc_lo
	s_delay_alu instid0(VALU_DEP_2) | instskip(SKIP_1) | instid1(VALU_DEP_2)
	v_add_co_u32 v4, vcc_lo, v12, s0
	s_wait_alu 0xfffd
	v_add_co_ci_u32_e32 v5, vcc_lo, s1, v13, vcc_lo
	global_store_b64 v[0:1], v[22:23], off
	global_store_b64 v[10:11], v[2:3], off
	global_store_b64 v[8:9], v[6:7], off
	global_store_b64 v[12:13], v[24:25], off
	global_store_b64 v[4:5], v[28:29], off
.LBB0_2:
	s_nop 0
	s_sendmsg sendmsg(MSG_DEALLOC_VGPRS)
	s_endpgm
	.section	.rodata,"a",@progbits
	.p2align	6, 0x0
	.amdhsa_kernel bluestein_single_fwd_len3000_dim1_sp_op_CI_CI
		.amdhsa_group_segment_fixed_size 24000
		.amdhsa_private_segment_fixed_size 312
		.amdhsa_kernarg_size 104
		.amdhsa_user_sgpr_count 2
		.amdhsa_user_sgpr_dispatch_ptr 0
		.amdhsa_user_sgpr_queue_ptr 0
		.amdhsa_user_sgpr_kernarg_segment_ptr 1
		.amdhsa_user_sgpr_dispatch_id 0
		.amdhsa_user_sgpr_private_segment_size 0
		.amdhsa_wavefront_size32 1
		.amdhsa_uses_dynamic_stack 0
		.amdhsa_enable_private_segment 1
		.amdhsa_system_sgpr_workgroup_id_x 1
		.amdhsa_system_sgpr_workgroup_id_y 0
		.amdhsa_system_sgpr_workgroup_id_z 0
		.amdhsa_system_sgpr_workgroup_info 0
		.amdhsa_system_vgpr_workitem_id 0
		.amdhsa_next_free_vgpr 256
		.amdhsa_next_free_sgpr 20
		.amdhsa_reserve_vcc 1
		.amdhsa_float_round_mode_32 0
		.amdhsa_float_round_mode_16_64 0
		.amdhsa_float_denorm_mode_32 3
		.amdhsa_float_denorm_mode_16_64 3
		.amdhsa_fp16_overflow 0
		.amdhsa_workgroup_processor_mode 1
		.amdhsa_memory_ordered 1
		.amdhsa_forward_progress 0
		.amdhsa_round_robin_scheduling 0
		.amdhsa_exception_fp_ieee_invalid_op 0
		.amdhsa_exception_fp_denorm_src 0
		.amdhsa_exception_fp_ieee_div_zero 0
		.amdhsa_exception_fp_ieee_overflow 0
		.amdhsa_exception_fp_ieee_underflow 0
		.amdhsa_exception_fp_ieee_inexact 0
		.amdhsa_exception_int_div_zero 0
	.end_amdhsa_kernel
	.text
.Lfunc_end0:
	.size	bluestein_single_fwd_len3000_dim1_sp_op_CI_CI, .Lfunc_end0-bluestein_single_fwd_len3000_dim1_sp_op_CI_CI
                                        ; -- End function
	.section	.AMDGPU.csdata,"",@progbits
; Kernel info:
; codeLenInByte = 35752
; NumSgprs: 22
; NumVgprs: 256
; ScratchSize: 312
; MemoryBound: 0
; FloatMode: 240
; IeeeMode: 1
; LDSByteSize: 24000 bytes/workgroup (compile time only)
; SGPRBlocks: 2
; VGPRBlocks: 31
; NumSGPRsForWavesPerEU: 22
; NumVGPRsForWavesPerEU: 256
; Occupancy: 5
; WaveLimiterHint : 1
; COMPUTE_PGM_RSRC2:SCRATCH_EN: 1
; COMPUTE_PGM_RSRC2:USER_SGPR: 2
; COMPUTE_PGM_RSRC2:TRAP_HANDLER: 0
; COMPUTE_PGM_RSRC2:TGID_X_EN: 1
; COMPUTE_PGM_RSRC2:TGID_Y_EN: 0
; COMPUTE_PGM_RSRC2:TGID_Z_EN: 0
; COMPUTE_PGM_RSRC2:TIDIG_COMP_CNT: 0
	.text
	.p2alignl 7, 3214868480
	.fill 96, 4, 3214868480
	.type	__hip_cuid_1b85f664d28decd0,@object ; @__hip_cuid_1b85f664d28decd0
	.section	.bss,"aw",@nobits
	.globl	__hip_cuid_1b85f664d28decd0
__hip_cuid_1b85f664d28decd0:
	.byte	0                               ; 0x0
	.size	__hip_cuid_1b85f664d28decd0, 1

	.ident	"AMD clang version 19.0.0git (https://github.com/RadeonOpenCompute/llvm-project roc-6.4.0 25133 c7fe45cf4b819c5991fe208aaa96edf142730f1d)"
	.section	".note.GNU-stack","",@progbits
	.addrsig
	.addrsig_sym __hip_cuid_1b85f664d28decd0
	.amdgpu_metadata
---
amdhsa.kernels:
  - .args:
      - .actual_access:  read_only
        .address_space:  global
        .offset:         0
        .size:           8
        .value_kind:     global_buffer
      - .actual_access:  read_only
        .address_space:  global
        .offset:         8
        .size:           8
        .value_kind:     global_buffer
      - .actual_access:  read_only
        .address_space:  global
        .offset:         16
        .size:           8
        .value_kind:     global_buffer
      - .actual_access:  read_only
        .address_space:  global
        .offset:         24
        .size:           8
        .value_kind:     global_buffer
      - .actual_access:  read_only
        .address_space:  global
        .offset:         32
        .size:           8
        .value_kind:     global_buffer
      - .offset:         40
        .size:           8
        .value_kind:     by_value
      - .address_space:  global
        .offset:         48
        .size:           8
        .value_kind:     global_buffer
      - .address_space:  global
        .offset:         56
        .size:           8
        .value_kind:     global_buffer
      - .address_space:  global
        .offset:         64
        .size:           8
        .value_kind:     global_buffer
      - .address_space:  global
        .offset:         72
        .size:           8
        .value_kind:     global_buffer
      - .offset:         80
        .size:           4
        .value_kind:     by_value
      - .address_space:  global
        .offset:         88
        .size:           8
        .value_kind:     global_buffer
      - .address_space:  global
        .offset:         96
        .size:           8
        .value_kind:     global_buffer
    .group_segment_fixed_size: 24000
    .kernarg_segment_align: 8
    .kernarg_segment_size: 104
    .language:       OpenCL C
    .language_version:
      - 2
      - 0
    .max_flat_workgroup_size: 100
    .name:           bluestein_single_fwd_len3000_dim1_sp_op_CI_CI
    .private_segment_fixed_size: 312
    .sgpr_count:     22
    .sgpr_spill_count: 0
    .symbol:         bluestein_single_fwd_len3000_dim1_sp_op_CI_CI.kd
    .uniform_work_group_size: 1
    .uses_dynamic_stack: false
    .vgpr_count:     256
    .vgpr_spill_count: 77
    .wavefront_size: 32
    .workgroup_processor_mode: 1
amdhsa.target:   amdgcn-amd-amdhsa--gfx1201
amdhsa.version:
  - 1
  - 2
...

	.end_amdgpu_metadata
